;; amdgpu-corpus repo=ROCm/rocFFT kind=compiled arch=gfx1030 opt=O3
	.text
	.amdgcn_target "amdgcn-amd-amdhsa--gfx1030"
	.amdhsa_code_object_version 6
	.protected	bluestein_single_back_len3840_dim1_dp_op_CI_CI ; -- Begin function bluestein_single_back_len3840_dim1_dp_op_CI_CI
	.globl	bluestein_single_back_len3840_dim1_dp_op_CI_CI
	.p2align	8
	.type	bluestein_single_back_len3840_dim1_dp_op_CI_CI,@function
bluestein_single_back_len3840_dim1_dp_op_CI_CI: ; @bluestein_single_back_len3840_dim1_dp_op_CI_CI
; %bb.0:
	s_load_dwordx4 s[16:19], s[4:5], 0x28
	s_mov_b64 s[38:39], s[2:3]
	s_mov_b64 s[36:37], s[0:1]
	v_mov_b32_e32 v253, v0
	s_add_u32 s36, s36, s7
	s_addc_u32 s37, s37, 0
	s_mov_b32 s7, 0
	s_mov_b32 s1, exec_lo
	s_waitcnt lgkmcnt(0)
	v_cmpx_lt_u64_e64 s[6:7], s[16:17]
	s_cbranch_execz .LBB0_2
; %bb.1:
	s_clause 0x1
	s_load_dwordx4 s[0:3], s[4:5], 0x18
	s_load_dwordx4 s[8:11], s[4:5], 0x0
	v_mov_b32_e32 v4, s6
	v_mov_b32_e32 v5, s7
	v_lshlrev_b32_e32 v247, 4, v253
	v_or_b32_e32 v113, 0x180, v253
	v_or_b32_e32 v180, 0x300, v253
	;; [unrolled: 1-line block ×14, first 2 shown]
	s_mov_b32 s20, 0x134454ff
	s_waitcnt lgkmcnt(0)
	s_load_dwordx4 s[12:15], s[0:1], 0x0
	buffer_store_dword v4, off, s[36:39], 0 offset:532 ; 4-byte Folded Spill
	buffer_store_dword v5, off, s[36:39], 0 offset:536 ; 4-byte Folded Spill
	s_add_u32 s6, s8, 0xf000
	s_addc_u32 s7, s9, 0
	s_mov_b32 s21, 0x3fee6f0e
	s_mov_b32 s23, 0xbfee6f0e
	;; [unrolled: 1-line block ×11, first 2 shown]
	s_waitcnt lgkmcnt(0)
	v_mad_u64_u32 v[2:3], null, s12, v253, 0
	s_mul_i32 s0, s13, 0x1800
	s_mul_i32 s1, s12, 0x1800
	v_mad_u64_u32 v[0:1], null, s14, v4, 0
	s_mul_hi_u32 s14, s12, 0x1800
	s_add_i32 s0, s14, s0
	v_mad_u64_u32 v[4:5], null, s15, v4, v[1:2]
	s_mov_b32 s14, 0x4755a5e
	s_mov_b32 s15, 0x3fe2cf23
	v_mad_u64_u32 v[5:6], null, s13, v253, v[3:4]
	v_mov_b32_e32 v1, v4
	s_mul_i32 s13, s13, 0xffff3000
	s_sub_i32 s13, s13, s12
	v_lshlrev_b64 v[0:1], 4, v[0:1]
	v_mov_b32_e32 v3, v5
	v_add_co_u32 v0, vcc_lo, s18, v0
	v_lshlrev_b64 v[2:3], 4, v[2:3]
	v_add_co_ci_u32_e32 v1, vcc_lo, s19, v1, vcc_lo
	s_mov_b32 s19, 0xbfe2cf23
	s_mov_b32 s18, s14
	v_add_co_u32 v5, vcc_lo, v0, v2
	v_add_co_ci_u32_e32 v6, vcc_lo, v1, v3, vcc_lo
	global_load_dwordx4 v[91:94], v247, s[8:9]
	global_load_dwordx4 v[1:4], v[5:6], off
	v_lshlrev_b32_e32 v0, 4, v113
	v_add_co_u32 v9, vcc_lo, v5, s1
	v_add_co_ci_u32_e32 v10, vcc_lo, s0, v6, vcc_lo
	buffer_store_dword v0, off, s[36:39], 0 offset:480 ; 4-byte Folded Spill
	global_load_dwordx4 v[55:58], v0, s[8:9]
	global_load_dwordx4 v[5:8], v[9:10], off
	v_lshlrev_b32_e32 v0, 4, v180
	v_add_co_u32 v13, vcc_lo, v9, s1
	v_add_co_ci_u32_e32 v14, vcc_lo, s0, v10, vcc_lo
	buffer_store_dword v0, off, s[36:39], 0 offset:484 ; 4-byte Folded Spill
	;; [unrolled: 6-line block ×4, first 2 shown]
	global_load_dwordx4 v[63:66], v0, s[8:9]
	global_load_dwordx4 v[17:20], v[21:22], off
	v_add_co_u32 v25, vcc_lo, v21, s1
	v_or_b32_e32 v0, 0x7800, v247
	v_add_co_ci_u32_e32 v26, vcc_lo, s0, v22, vcc_lo
	global_load_dwordx4 v[67:70], v0, s[8:9]
	global_load_dwordx4 v[21:24], v[25:26], off
	v_add_co_u32 v29, vcc_lo, v25, s1
	v_or_b32_e32 v0, 0x9000, v247
	v_add_co_ci_u32_e32 v30, vcc_lo, s0, v26, vcc_lo
	;; [unrolled: 5-line block ×4, first 2 shown]
	global_load_dwordx4 v[83:86], v0, s[8:9]
	global_load_dwordx4 v[33:36], v[37:38], off
	v_add_co_u32 v41, vcc_lo, v37, s1
	v_add_co_ci_u32_e32 v42, vcc_lo, s0, v38, vcc_lo
	v_or_b32_e32 v0, 0xd800, v247
	global_load_dwordx4 v[87:90], v0, s[8:9]
	global_load_dwordx4 v[37:40], v[41:42], off
	v_mad_u64_u32 v[45:46], null, 0xffff3000, s12, v[41:42]
	v_lshlrev_b32_e32 v0, 4, v115
	buffer_store_dword v0, off, s[36:39], 0 offset:524 ; 4-byte Folded Spill
	v_add_nc_u32_e32 v46, s13, v46
	global_load_dwordx4 v[71:74], v0, s[8:9]
	global_load_dwordx4 v[41:44], v[45:46], off
	v_lshlrev_b32_e32 v0, 4, v181
	s_waitcnt vmcnt(21)
	buffer_store_dword v91, off, s[36:39], 0 offset:464 ; 4-byte Folded Spill
	buffer_store_dword v92, off, s[36:39], 0 offset:468 ; 4-byte Folded Spill
	buffer_store_dword v93, off, s[36:39], 0 offset:472 ; 4-byte Folded Spill
	buffer_store_dword v94, off, s[36:39], 0 offset:476 ; 4-byte Folded Spill
	s_waitcnt vmcnt(19)
	buffer_store_dword v55, off, s[36:39], 0 offset:256 ; 4-byte Folded Spill
	buffer_store_dword v56, off, s[36:39], 0 offset:260 ; 4-byte Folded Spill
	buffer_store_dword v57, off, s[36:39], 0 offset:264 ; 4-byte Folded Spill
	buffer_store_dword v58, off, s[36:39], 0 offset:268 ; 4-byte Folded Spill
	;; [unrolled: 5-line block ×10, first 2 shown]
	s_waitcnt vmcnt(1)
	buffer_store_dword v71, off, s[36:39], 0 ; 4-byte Folded Spill
	buffer_store_dword v72, off, s[36:39], 0 offset:4 ; 4-byte Folded Spill
	buffer_store_dword v73, off, s[36:39], 0 offset:8 ; 4-byte Folded Spill
	;; [unrolled: 1-line block ×4, first 2 shown]
	v_mul_f64 v[47:48], v[3:4], v[93:94]
	v_mul_f64 v[49:50], v[1:2], v[93:94]
	v_fma_f64 v[1:2], v[1:2], v[91:92], v[47:48]
	v_fma_f64 v[3:4], v[3:4], v[91:92], -v[49:50]
	v_mul_f64 v[47:48], v[7:8], v[57:58]
	v_mul_f64 v[49:50], v[5:6], v[57:58]
	v_fma_f64 v[5:6], v[5:6], v[55:56], v[47:48]
	v_fma_f64 v[7:8], v[7:8], v[55:56], -v[49:50]
	global_load_dwordx4 v[55:58], v0, s[8:9]
	v_mul_f64 v[49:50], v[9:10], v[61:62]
	v_mul_f64 v[47:48], v[11:12], v[61:62]
	v_lshlrev_b32_e32 v0, 4, v140
	s_waitcnt vmcnt(0)
	buffer_store_dword v55, off, s[36:39], 0 offset:352 ; 4-byte Folded Spill
	buffer_store_dword v56, off, s[36:39], 0 offset:356 ; 4-byte Folded Spill
	;; [unrolled: 1-line block ×4, first 2 shown]
	v_fma_f64 v[11:12], v[11:12], v[59:60], -v[49:50]
	v_mul_f64 v[49:50], v[13:14], v[53:54]
	v_fma_f64 v[9:10], v[9:10], v[59:60], v[47:48]
	v_mul_f64 v[47:48], v[15:16], v[53:54]
	global_load_dwordx4 v[59:62], v0, s[8:9]
	buffer_store_dword v0, off, s[36:39], 0 offset:500 ; 4-byte Folded Spill
	v_lshlrev_b32_e32 v0, 4, v176
	v_fma_f64 v[15:16], v[15:16], v[51:52], -v[49:50]
	v_mul_f64 v[49:50], v[17:18], v[65:66]
	v_fma_f64 v[13:14], v[13:14], v[51:52], v[47:48]
	v_mul_f64 v[47:48], v[19:20], v[65:66]
	v_fma_f64 v[19:20], v[19:20], v[63:64], -v[49:50]
	v_mul_f64 v[49:50], v[21:22], v[69:70]
	v_fma_f64 v[17:18], v[17:18], v[63:64], v[47:48]
	v_mul_f64 v[47:48], v[23:24], v[69:70]
	v_fma_f64 v[23:24], v[23:24], v[67:68], -v[49:50]
	v_mul_f64 v[49:50], v[25:26], v[77:78]
	v_fma_f64 v[21:22], v[21:22], v[67:68], v[47:48]
	v_mul_f64 v[47:48], v[27:28], v[77:78]
	v_fma_f64 v[27:28], v[27:28], v[75:76], -v[49:50]
	v_mul_f64 v[49:50], v[29:30], v[81:82]
	v_fma_f64 v[25:26], v[25:26], v[75:76], v[47:48]
	v_mul_f64 v[47:48], v[31:32], v[81:82]
	v_fma_f64 v[31:32], v[31:32], v[79:80], -v[49:50]
	v_mul_f64 v[49:50], v[33:34], v[85:86]
	v_fma_f64 v[29:30], v[29:30], v[79:80], v[47:48]
	v_mul_f64 v[47:48], v[35:36], v[85:86]
	v_fma_f64 v[35:36], v[35:36], v[83:84], -v[49:50]
	v_mul_f64 v[49:50], v[37:38], v[89:90]
	v_fma_f64 v[33:34], v[33:34], v[83:84], v[47:48]
	v_mul_f64 v[47:48], v[39:40], v[89:90]
	v_fma_f64 v[39:40], v[39:40], v[87:88], -v[49:50]
	v_mul_f64 v[49:50], v[41:42], v[73:74]
	v_fma_f64 v[37:38], v[37:38], v[87:88], v[47:48]
	v_mul_f64 v[47:48], v[43:44], v[73:74]
	v_fma_f64 v[43:44], v[43:44], v[71:72], -v[49:50]
	v_add_co_u32 v49, vcc_lo, v45, s1
	v_add_co_ci_u32_e32 v50, vcc_lo, s0, v46, vcc_lo
	v_fma_f64 v[41:42], v[41:42], v[71:72], v[47:48]
	global_load_dwordx4 v[45:48], v[49:50], off
	s_waitcnt vmcnt(1)
	buffer_store_dword v59, off, s[36:39], 0 offset:368 ; 4-byte Folded Spill
	buffer_store_dword v60, off, s[36:39], 0 offset:372 ; 4-byte Folded Spill
	;; [unrolled: 1-line block ×4, first 2 shown]
	global_load_dwordx4 v[63:66], v0, s[8:9]
	buffer_store_dword v0, off, s[36:39], 0 offset:504 ; 4-byte Folded Spill
	v_lshlrev_b32_e32 v0, 4, v175
	s_waitcnt vmcnt(1)
	v_mul_f64 v[53:54], v[45:46], v[57:58]
	v_mul_f64 v[51:52], v[47:48], v[57:58]
	v_fma_f64 v[47:48], v[47:48], v[55:56], -v[53:54]
	v_add_co_u32 v53, vcc_lo, v49, s1
	v_add_co_ci_u32_e32 v54, vcc_lo, s0, v50, vcc_lo
	v_fma_f64 v[45:46], v[45:46], v[55:56], v[51:52]
	global_load_dwordx4 v[49:52], v[53:54], off
	s_waitcnt vmcnt(1)
	buffer_store_dword v63, off, s[36:39], 0 offset:384 ; 4-byte Folded Spill
	buffer_store_dword v64, off, s[36:39], 0 offset:388 ; 4-byte Folded Spill
	;; [unrolled: 1-line block ×4, first 2 shown]
	global_load_dwordx4 v[67:70], v0, s[8:9]
	buffer_store_dword v0, off, s[36:39], 0 offset:508 ; 4-byte Folded Spill
	v_or_b32_e32 v0, 0x8000, v247
	s_waitcnt vmcnt(1)
	v_mul_f64 v[57:58], v[49:50], v[61:62]
	v_mul_f64 v[55:56], v[51:52], v[61:62]
	v_fma_f64 v[51:52], v[51:52], v[59:60], -v[57:58]
	v_add_co_u32 v57, vcc_lo, v53, s1
	v_add_co_ci_u32_e32 v58, vcc_lo, s0, v54, vcc_lo
	v_fma_f64 v[49:50], v[49:50], v[59:60], v[55:56]
	global_load_dwordx4 v[53:56], v[57:58], off
	s_waitcnt vmcnt(1)
	buffer_store_dword v67, off, s[36:39], 0 offset:400 ; 4-byte Folded Spill
	buffer_store_dword v68, off, s[36:39], 0 offset:404 ; 4-byte Folded Spill
	buffer_store_dword v69, off, s[36:39], 0 offset:408 ; 4-byte Folded Spill
	buffer_store_dword v70, off, s[36:39], 0 offset:412 ; 4-byte Folded Spill
	global_load_dwordx4 v[71:74], v0, s[8:9]
	v_or_b32_e32 v0, 0x9800, v247
	s_waitcnt vmcnt(1)
	v_mul_f64 v[61:62], v[53:54], v[65:66]
	v_mul_f64 v[59:60], v[55:56], v[65:66]
	v_fma_f64 v[55:56], v[55:56], v[63:64], -v[61:62]
	v_add_co_u32 v61, vcc_lo, v57, s1
	v_add_co_ci_u32_e32 v62, vcc_lo, s0, v58, vcc_lo
	v_fma_f64 v[53:54], v[53:54], v[63:64], v[59:60]
	global_load_dwordx4 v[57:60], v[61:62], off
	s_waitcnt vmcnt(1)
	buffer_store_dword v71, off, s[36:39], 0 offset:432 ; 4-byte Folded Spill
	buffer_store_dword v72, off, s[36:39], 0 offset:436 ; 4-byte Folded Spill
	buffer_store_dword v73, off, s[36:39], 0 offset:440 ; 4-byte Folded Spill
	buffer_store_dword v74, off, s[36:39], 0 offset:444 ; 4-byte Folded Spill
	global_load_dwordx4 v[75:78], v0, s[8:9]
	;; [unrolled: 15-line block ×5, first 2 shown]
	v_lshlrev_b32_e32 v0, 4, v114
	s_waitcnt vmcnt(1)
	v_mul_f64 v[77:78], v[69:70], v[81:82]
	v_mul_f64 v[75:76], v[71:72], v[81:82]
	v_fma_f64 v[71:72], v[71:72], v[79:80], -v[77:78]
	v_add_co_u32 v77, vcc_lo, v73, s1
	v_add_co_ci_u32_e32 v78, vcc_lo, s0, v74, vcc_lo
	v_fma_f64 v[69:70], v[69:70], v[79:80], v[75:76]
	global_load_dwordx4 v[73:76], v[77:78], off
	s_waitcnt vmcnt(1)
	buffer_store_dword v87, off, s[36:39], 0 offset:304 ; 4-byte Folded Spill
	buffer_store_dword v88, off, s[36:39], 0 offset:308 ; 4-byte Folded Spill
	;; [unrolled: 1-line block ×4, first 2 shown]
	global_load_dwordx4 v[91:94], v0, s[8:9]
	buffer_store_dword v0, off, s[36:39], 0 offset:528 ; 4-byte Folded Spill
	v_lshlrev_b32_e32 v0, 4, v182
	s_waitcnt vmcnt(1)
	v_mul_f64 v[81:82], v[73:74], v[85:86]
	v_mul_f64 v[79:80], v[75:76], v[85:86]
	v_fma_f64 v[75:76], v[75:76], v[83:84], -v[81:82]
	v_add_co_u32 v81, vcc_lo, v77, s1
	v_add_co_ci_u32_e32 v82, vcc_lo, s0, v78, vcc_lo
	v_fma_f64 v[73:74], v[73:74], v[83:84], v[79:80]
	global_load_dwordx4 v[77:80], v[81:82], off
	s_waitcnt vmcnt(1)
	buffer_store_dword v91, off, s[36:39], 0 offset:272 ; 4-byte Folded Spill
	buffer_store_dword v92, off, s[36:39], 0 offset:276 ; 4-byte Folded Spill
	;; [unrolled: 1-line block ×4, first 2 shown]
	global_load_dwordx4 v[95:98], v0, s[8:9]
	buffer_store_dword v0, off, s[36:39], 0 offset:512 ; 4-byte Folded Spill
	v_lshlrev_b32_e32 v0, 4, v178
	s_waitcnt vmcnt(1)
	v_mul_f64 v[85:86], v[77:78], v[89:90]
	v_mul_f64 v[83:84], v[79:80], v[89:90]
	v_fma_f64 v[79:80], v[79:80], v[87:88], -v[85:86]
	v_mad_u64_u32 v[85:86], null, 0xffff3000, s12, v[81:82]
	v_fma_f64 v[77:78], v[77:78], v[87:88], v[83:84]
	v_add_nc_u32_e32 v86, s13, v86
	s_mov_b32 s13, 0xbfebb67a
	global_load_dwordx4 v[81:84], v[85:86], off
	s_waitcnt vmcnt(1)
	buffer_store_dword v95, off, s[36:39], 0 offset:192 ; 4-byte Folded Spill
	buffer_store_dword v96, off, s[36:39], 0 offset:196 ; 4-byte Folded Spill
	;; [unrolled: 1-line block ×4, first 2 shown]
	global_load_dwordx4 v[99:102], v0, s[8:9]
	buffer_store_dword v0, off, s[36:39], 0 offset:516 ; 4-byte Folded Spill
	v_lshlrev_b32_e32 v0, 4, v177
	s_waitcnt vmcnt(1)
	v_mul_f64 v[89:90], v[81:82], v[93:94]
	v_mul_f64 v[87:88], v[83:84], v[93:94]
	v_fma_f64 v[83:84], v[83:84], v[91:92], -v[89:90]
	v_add_co_u32 v89, vcc_lo, v85, s1
	v_add_co_ci_u32_e32 v90, vcc_lo, s0, v86, vcc_lo
	v_fma_f64 v[81:82], v[81:82], v[91:92], v[87:88]
	global_load_dwordx4 v[85:88], v[89:90], off
	s_waitcnt vmcnt(1)
	buffer_store_dword v99, off, s[36:39], 0 offset:32 ; 4-byte Folded Spill
	buffer_store_dword v100, off, s[36:39], 0 offset:36 ; 4-byte Folded Spill
	;; [unrolled: 1-line block ×5, first 2 shown]
	s_waitcnt vmcnt(0)
	v_mul_f64 v[93:94], v[85:86], v[97:98]
	v_mul_f64 v[91:92], v[87:88], v[97:98]
	v_fma_f64 v[87:88], v[87:88], v[95:96], -v[93:94]
	v_add_co_u32 v93, vcc_lo, v89, s1
	v_add_co_ci_u32_e32 v94, vcc_lo, s0, v90, vcc_lo
	v_fma_f64 v[85:86], v[85:86], v[95:96], v[91:92]
	global_load_dwordx4 v[89:92], v[93:94], off
	s_waitcnt vmcnt(0)
	v_mul_f64 v[97:98], v[89:90], v[101:102]
	v_mul_f64 v[95:96], v[91:92], v[101:102]
	v_fma_f64 v[91:92], v[91:92], v[99:100], -v[97:98]
	v_add_co_u32 v97, vcc_lo, v93, s1
	v_add_co_ci_u32_e32 v98, vcc_lo, s0, v94, vcc_lo
	v_fma_f64 v[89:90], v[89:90], v[99:100], v[95:96]
	global_load_dwordx4 v[103:106], v0, s[8:9]
	global_load_dwordx4 v[93:96], v[97:98], off
	v_lshlrev_b32_e32 v0, 4, v179
	s_waitcnt vmcnt(1)
	buffer_store_dword v103, off, s[36:39], 0 offset:16 ; 4-byte Folded Spill
	buffer_store_dword v104, off, s[36:39], 0 offset:20 ; 4-byte Folded Spill
	;; [unrolled: 1-line block ×4, first 2 shown]
	global_load_dwordx4 v[107:110], v0, s[8:9]
	buffer_store_dword v0, off, s[36:39], 0 offset:540 ; 4-byte Folded Spill
	v_or_b32_e32 v0, 0x8800, v247
	s_waitcnt vmcnt(0)
	buffer_store_dword v107, off, s[36:39], 0 offset:48 ; 4-byte Folded Spill
	buffer_store_dword v108, off, s[36:39], 0 offset:52 ; 4-byte Folded Spill
	;; [unrolled: 1-line block ×4, first 2 shown]
	v_mul_f64 v[101:102], v[93:94], v[105:106]
	v_mul_f64 v[99:100], v[95:96], v[105:106]
	global_load_dwordx4 v[116:119], v0, s[8:9]
	v_or_b32_e32 v0, 0xa000, v247
	v_fma_f64 v[95:96], v[95:96], v[103:104], -v[101:102]
	v_add_co_u32 v101, vcc_lo, v97, s1
	v_add_co_ci_u32_e32 v102, vcc_lo, s0, v98, vcc_lo
	v_fma_f64 v[93:94], v[93:94], v[103:104], v[99:100]
	global_load_dwordx4 v[97:100], v[101:102], off
	s_waitcnt vmcnt(1)
	buffer_store_dword v116, off, s[36:39], 0 offset:176 ; 4-byte Folded Spill
	buffer_store_dword v117, off, s[36:39], 0 offset:180 ; 4-byte Folded Spill
	;; [unrolled: 1-line block ×4, first 2 shown]
	s_waitcnt vmcnt(0)
	v_mul_f64 v[105:106], v[97:98], v[109:110]
	v_mul_f64 v[103:104], v[99:100], v[109:110]
	v_fma_f64 v[99:100], v[99:100], v[107:108], -v[105:106]
	v_add_co_u32 v105, vcc_lo, v101, s1
	v_add_co_ci_u32_e32 v106, vcc_lo, s0, v102, vcc_lo
	v_fma_f64 v[97:98], v[97:98], v[107:108], v[103:104]
	global_load_dwordx4 v[101:104], v[105:106], off
	s_waitcnt vmcnt(0)
	v_mul_f64 v[107:108], v[103:104], v[118:119]
	v_mul_f64 v[109:110], v[101:102], v[118:119]
	global_load_dwordx4 v[118:121], v0, s[8:9]
	v_or_b32_e32 v0, 0xb800, v247
	s_waitcnt vmcnt(0)
	buffer_store_dword v118, off, s[36:39], 0 offset:208 ; 4-byte Folded Spill
	buffer_store_dword v119, off, s[36:39], 0 offset:212 ; 4-byte Folded Spill
	buffer_store_dword v120, off, s[36:39], 0 offset:216 ; 4-byte Folded Spill
	buffer_store_dword v121, off, s[36:39], 0 offset:220 ; 4-byte Folded Spill
	v_fma_f64 v[103:104], v[103:104], v[116:117], -v[109:110]
	v_add_co_u32 v109, vcc_lo, v105, s1
	v_add_co_ci_u32_e32 v110, vcc_lo, s0, v106, vcc_lo
	v_fma_f64 v[101:102], v[101:102], v[116:117], v[107:108]
	global_load_dwordx4 v[122:125], v0, s[8:9]
	v_or_b32_e32 v0, 0xd000, v247
	global_load_dwordx4 v[105:108], v[109:110], off
	s_waitcnt vmcnt(1)
	buffer_store_dword v122, off, s[36:39], 0 offset:240 ; 4-byte Folded Spill
	buffer_store_dword v123, off, s[36:39], 0 offset:244 ; 4-byte Folded Spill
	;; [unrolled: 1-line block ×4, first 2 shown]
	global_load_dwordx4 v[126:129], v0, s[8:9]
	s_waitcnt vmcnt(1)
	v_mul_f64 v[116:117], v[105:106], v[120:121]
	v_mul_f64 v[111:112], v[107:108], v[120:121]
	v_or_b32_e32 v0, 0xe800, v247
	v_fma_f64 v[107:108], v[107:108], v[118:119], -v[116:117]
	v_add_co_u32 v116, vcc_lo, v109, s1
	v_add_co_ci_u32_e32 v117, vcc_lo, s0, v110, vcc_lo
	v_fma_f64 v[105:106], v[105:106], v[118:119], v[111:112]
	global_load_dwordx4 v[109:112], v[116:117], off
	s_waitcnt vmcnt(1)
	buffer_store_dword v126, off, s[36:39], 0 offset:288 ; 4-byte Folded Spill
	buffer_store_dword v127, off, s[36:39], 0 offset:292 ; 4-byte Folded Spill
	;; [unrolled: 1-line block ×4, first 2 shown]
	s_waitcnt vmcnt(0)
	v_mul_f64 v[120:121], v[109:110], v[124:125]
	v_mul_f64 v[118:119], v[111:112], v[124:125]
	v_fma_f64 v[111:112], v[111:112], v[122:123], -v[120:121]
	v_add_co_u32 v120, vcc_lo, v116, s1
	v_add_co_ci_u32_e32 v121, vcc_lo, s0, v117, vcc_lo
	v_fma_f64 v[109:110], v[109:110], v[122:123], v[118:119]
	global_load_dwordx4 v[116:119], v[120:121], off
	v_add_co_u32 v120, vcc_lo, v120, s1
	v_add_co_ci_u32_e32 v121, vcc_lo, s0, v121, vcc_lo
	v_cmp_gt_u32_e32 vcc_lo, 0x78, v253
	s_waitcnt vmcnt(0)
	v_mul_f64 v[122:123], v[118:119], v[128:129]
	v_mul_f64 v[124:125], v[116:117], v[128:129]
	v_fma_f64 v[116:117], v[116:117], v[126:127], v[122:123]
	global_load_dwordx4 v[120:123], v[120:121], off
	global_load_dwordx4 v[128:131], v0, s[8:9]
	v_fma_f64 v[118:119], v[118:119], v[126:127], -v[124:125]
	s_waitcnt vmcnt(0)
	buffer_store_dword v128, off, s[36:39], 0 offset:320 ; 4-byte Folded Spill
	buffer_store_dword v129, off, s[36:39], 0 offset:324 ; 4-byte Folded Spill
	;; [unrolled: 1-line block ×4, first 2 shown]
	v_mul_f64 v[124:125], v[122:123], v[130:131]
	v_mul_f64 v[126:127], v[120:121], v[130:131]
	v_fma_f64 v[120:121], v[120:121], v[128:129], v[124:125]
	v_fma_f64 v[122:123], v[122:123], v[128:129], -v[126:127]
	ds_write_b128 v247, v[1:4]
	ds_write_b128 v247, v[5:8] offset:6144
	ds_write_b128 v247, v[9:12] offset:12288
	;; [unrolled: 1-line block ×29, first 2 shown]
	s_load_dwordx4 s[0:3], s[2:3], 0x0
	s_waitcnt lgkmcnt(0)
	s_waitcnt_vscnt null, 0x0
	s_barrier
	buffer_gl0_inv
	ds_read_b128 v[0:3], v247 offset:24576
	ds_read_b128 v[20:23], v247 offset:36864
	ds_read_b128 v[8:11], v247
	ds_read_b128 v[12:15], v247 offset:12288
	ds_read_b128 v[24:27], v247 offset:49152
	v_mul_u32_u24_e32 v112, 10, v253
	v_lshlrev_b32_e32 v248, 4, v112
	s_waitcnt lgkmcnt(3)
	v_add_f64 v[4:5], v[0:1], v[20:21]
	s_waitcnt lgkmcnt(1)
	v_add_f64 v[28:29], v[8:9], v[12:13]
	;; [unrolled: 2-line block ×3, first 2 shown]
	v_add_f64 v[30:31], v[10:11], v[14:15]
	v_add_f64 v[18:19], v[14:15], v[26:27]
	v_add_f64 v[44:45], v[12:13], -v[0:1]
	v_add_f64 v[36:37], v[0:1], -v[12:13]
	;; [unrolled: 1-line block ×8, first 2 shown]
	v_fma_f64 v[4:5], v[4:5], -0.5, v[8:9]
	v_add_f64 v[28:29], v[28:29], v[0:1]
	v_fma_f64 v[16:17], v[6:7], -0.5, v[8:9]
	v_add_f64 v[6:7], v[2:3], v[22:23]
	v_add_f64 v[30:31], v[30:31], v[2:3]
	v_fma_f64 v[18:19], v[18:19], -0.5, v[10:11]
	v_add_f64 v[8:9], v[14:15], -v[26:27]
	v_add_f64 v[14:15], v[0:1], -v[20:21]
	v_add_f64 v[44:45], v[44:45], v[52:53]
	v_add_f64 v[48:49], v[48:49], v[56:57]
	;; [unrolled: 1-line block ×3, first 2 shown]
	v_fma_f64 v[6:7], v[6:7], -0.5, v[10:11]
	v_add_f64 v[10:11], v[12:13], -v[24:25]
	v_add_f64 v[12:13], v[2:3], -v[22:23]
	v_add_f64 v[2:3], v[30:31], v[22:23]
	v_add_f64 v[60:61], v[0:1], v[24:25]
	;; [unrolled: 1-line block ×3, first 2 shown]
	ds_read_b128 v[0:3], v247 offset:43008
	ds_read_b128 v[28:31], v247 offset:30720
	;; [unrolled: 1-line block ×5, first 2 shown]
	s_waitcnt lgkmcnt(3)
	v_add_f64 v[20:21], v[28:29], v[0:1]
	s_waitcnt lgkmcnt(1)
	v_add_f64 v[70:71], v[74:75], -v[2:3]
	s_waitcnt lgkmcnt(0)
	v_add_f64 v[58:59], v[26:27], v[68:69]
	v_add_f64 v[22:23], v[66:67], v[72:73]
	;; [unrolled: 1-line block ×4, first 2 shown]
	v_add_f64 v[64:65], v[66:67], -v[28:29]
	v_add_f64 v[46:47], v[28:29], -v[66:67]
	;; [unrolled: 1-line block ×3, first 2 shown]
	v_fma_f64 v[20:21], v[20:21], -0.5, v[24:25]
	v_add_f64 v[58:59], v[58:59], v[30:31]
	v_fma_f64 v[32:33], v[22:23], -0.5, v[24:25]
	v_add_f64 v[22:23], v[30:31], v[2:3]
	v_add_f64 v[54:55], v[54:55], v[28:29]
	v_fma_f64 v[34:35], v[34:35], -0.5, v[26:27]
	v_add_f64 v[24:25], v[68:69], -v[74:75]
	v_add_f64 v[28:29], v[28:29], -v[0:1]
	v_add_f64 v[78:79], v[58:59], v[2:3]
	v_add_f64 v[58:59], v[2:3], -v[74:75]
	v_fma_f64 v[22:23], v[22:23], -0.5, v[26:27]
	v_add_f64 v[26:27], v[66:67], -v[72:73]
	v_add_f64 v[66:67], v[68:69], -v[30:31]
	;; [unrolled: 1-line block ×3, first 2 shown]
	v_add_f64 v[76:77], v[54:55], v[0:1]
	v_add_f64 v[68:69], v[72:73], -v[0:1]
	v_add_f64 v[54:55], v[0:1], -v[72:73]
	ds_read_b128 v[0:3], v247 offset:26624
	ds_read_b128 v[92:95], v247 offset:38912
	;; [unrolled: 1-line block ×5, first 2 shown]
	v_add_f64 v[74:75], v[78:79], v[74:75]
	v_add_f64 v[50:51], v[50:51], v[58:59]
	;; [unrolled: 1-line block ×3, first 2 shown]
	v_fma_f64 v[66:67], v[26:27], s[22:23], v[22:23]
	v_add_f64 v[72:73], v[76:77], v[72:73]
	s_waitcnt lgkmcnt(3)
	v_add_f64 v[76:77], v[0:1], v[92:93]
	s_waitcnt lgkmcnt(1)
	;; [unrolled: 2-line block ×3, first 2 shown]
	v_add_f64 v[78:79], v[84:85], v[96:97]
	v_add_f64 v[102:103], v[82:83], v[86:87]
	;; [unrolled: 1-line block ×3, first 2 shown]
	v_add_f64 v[120:121], v[84:85], -v[0:1]
	v_add_f64 v[108:109], v[0:1], -v[84:85]
	;; [unrolled: 1-line block ×8, first 2 shown]
	v_add_f64 v[52:53], v[64:65], v[68:69]
	v_fma_f64 v[64:65], v[24:25], s[20:21], v[20:21]
	v_add_f64 v[46:47], v[46:47], v[54:55]
	v_fma_f64 v[20:21], v[24:25], s[22:23], v[20:21]
	v_fma_f64 v[66:67], v[28:29], s[18:19], v[66:67]
	v_fma_f64 v[76:77], v[76:77], -0.5, v[80:81]
	v_add_f64 v[100:101], v[100:101], v[0:1]
	v_fma_f64 v[88:89], v[78:79], -0.5, v[80:81]
	v_add_f64 v[78:79], v[2:3], v[94:95]
	v_add_f64 v[102:103], v[102:103], v[2:3]
	v_fma_f64 v[90:91], v[90:91], -0.5, v[82:83]
	v_add_f64 v[80:81], v[86:87], -v[98:99]
	v_add_f64 v[86:87], v[0:1], -v[92:93]
	v_fma_f64 v[64:65], v[30:31], s[14:15], v[64:65]
	v_fma_f64 v[66:67], v[56:57], s[16:17], v[66:67]
	v_add_f64 v[0:1], v[100:101], v[92:93]
	v_fma_f64 v[78:79], v[78:79], -0.5, v[82:83]
	v_add_f64 v[82:83], v[84:85], -v[96:97]
	v_add_f64 v[84:85], v[2:3], -v[94:95]
	v_add_f64 v[2:3], v[102:103], v[94:95]
	v_fma_f64 v[64:65], v[52:53], s[16:17], v[64:65]
	v_add_f64 v[149:150], v[0:1], v[96:97]
	v_add_f64 v[151:152], v[2:3], v[98:99]
	ds_read_b128 v[0:3], v247 offset:45056
	ds_read_b128 v[100:103], v247 offset:32768
	;; [unrolled: 1-line block ×5, first 2 shown]
	v_mul_f64 v[68:69], v[64:65], s[24:25]
	v_mul_f64 v[64:65], v[64:65], s[18:19]
	s_waitcnt lgkmcnt(3)
	v_add_f64 v[92:93], v[100:101], v[0:1]
	s_waitcnt lgkmcnt(0)
	v_add_f64 v[94:95], v[132:133], v[145:146]
	v_add_f64 v[106:107], v[134:135], v[147:148]
	;; [unrolled: 1-line block ×4, first 2 shown]
	v_add_f64 v[136:137], v[132:133], -v[100:101]
	v_add_f64 v[124:125], v[100:101], -v[132:133]
	;; [unrolled: 1-line block ×4, first 2 shown]
	v_fma_f64 v[70:71], v[66:67], s[24:25], v[64:65]
	v_fma_f64 v[64:65], v[8:9], s[20:21], v[4:5]
	v_fma_f64 v[68:69], v[66:67], s[14:15], v[68:69]
	v_fma_f64 v[66:67], v[10:11], s[22:23], v[6:7]
	v_fma_f64 v[4:5], v[8:9], s[22:23], v[4:5]
	v_fma_f64 v[6:7], v[10:11], s[20:21], v[6:7]
	v_fma_f64 v[92:93], v[92:93], -0.5, v[96:97]
	v_fma_f64 v[104:105], v[94:95], -0.5, v[96:97]
	v_add_f64 v[94:95], v[102:103], v[2:3]
	v_fma_f64 v[106:107], v[106:107], -0.5, v[98:99]
	v_add_f64 v[96:97], v[134:135], -v[147:148]
	v_add_f64 v[134:135], v[143:144], v[102:103]
	v_add_f64 v[102:103], v[102:103], -v[2:3]
	v_add_f64 v[143:144], v[147:148], -v[2:3]
	v_fma_f64 v[64:65], v[12:13], s[14:15], v[64:65]
	v_fma_f64 v[66:67], v[14:15], s[18:19], v[66:67]
	;; [unrolled: 1-line block ×4, first 2 shown]
	v_fma_f64 v[94:95], v[94:95], -0.5, v[98:99]
	v_add_f64 v[98:99], v[132:133], -v[145:146]
	v_add_f64 v[132:133], v[141:142], v[100:101]
	v_add_f64 v[100:101], v[100:101], -v[0:1]
	v_add_f64 v[155:156], v[134:135], v[2:3]
	v_add_f64 v[141:142], v[145:146], -v[0:1]
	v_add_f64 v[134:135], v[2:3], -v[147:148]
	v_add_f64 v[153:154], v[132:133], v[0:1]
	v_add_f64 v[132:133], v[0:1], -v[145:146]
	ds_read_b128 v[0:3], v247 offset:4096
	ds_read_b128 v[169:172], v247 offset:16384
	v_add_f64 v[163:164], v[155:156], v[147:148]
	ds_read_b128 v[155:158], v247 offset:28672
	ds_read_b128 v[183:186], v247 offset:40960
	;; [unrolled: 1-line block ×3, first 2 shown]
	v_add_f64 v[161:162], v[153:154], v[145:146]
	s_waitcnt lgkmcnt(3)
	v_add_f64 v[145:146], v[0:1], v[169:170]
	s_waitcnt lgkmcnt(2)
	v_add_f64 v[165:166], v[169:170], -v[155:156]
	s_waitcnt lgkmcnt(1)
	v_add_f64 v[199:200], v[155:156], v[183:184]
	v_add_f64 v[153:154], v[155:156], -v[169:170]
	v_add_f64 v[201:202], v[157:158], v[185:186]
	v_add_f64 v[147:148], v[155:156], -v[183:184]
	v_add_f64 v[167:168], v[171:172], -v[157:158]
	s_waitcnt lgkmcnt(0)
	v_add_f64 v[203:204], v[169:170], v[187:188]
	v_add_f64 v[159:160], v[169:170], -v[187:188]
	v_add_f64 v[205:206], v[171:172], v[189:190]
	v_add_f64 v[207:208], v[187:188], -v[183:184]
	v_add_f64 v[169:170], v[183:184], -v[187:188]
	;; [unrolled: 1-line block ×3, first 2 shown]
	v_add_f64 v[191:192], v[145:146], v[155:156]
	v_add_f64 v[145:146], v[2:3], v[171:172]
	v_add_f64 v[155:156], v[157:158], -v[171:172]
	v_add_f64 v[191:192], v[191:192], v[183:184]
	v_add_f64 v[193:194], v[145:146], v[157:158]
	v_add_f64 v[145:146], v[157:158], -v[185:186]
	v_add_f64 v[157:158], v[171:172], -v[189:190]
	;; [unrolled: 1-line block ×3, first 2 shown]
	v_add_f64 v[211:212], v[191:192], v[187:188]
	v_add_f64 v[193:194], v[193:194], v[185:186]
	;; [unrolled: 1-line block ×3, first 2 shown]
	ds_read_b128 v[183:186], v247 offset:10240
	ds_read_b128 v[187:190], v247 offset:22528
	;; [unrolled: 1-line block ×3, first 2 shown]
	s_waitcnt lgkmcnt(1)
	v_add_f64 v[195:196], v[183:184], v[187:188]
	s_waitcnt lgkmcnt(0)
	v_add_f64 v[223:224], v[187:188], -v[191:192]
	v_add_f64 v[225:226], v[191:192], -v[187:188]
	;; [unrolled: 1-line block ×4, first 2 shown]
	v_add_f64 v[215:216], v[195:196], v[191:192]
	v_add_f64 v[195:196], v[185:186], v[189:190]
	;; [unrolled: 1-line block ×3, first 2 shown]
	ds_read_b128 v[195:198], v247 offset:47104
	s_waitcnt lgkmcnt(0)
	v_add_f64 v[219:220], v[191:192], v[195:196]
	v_add_f64 v[221:222], v[193:194], -v[197:198]
	v_add_f64 v[227:228], v[193:194], v[197:198]
	v_add_f64 v[229:230], v[191:192], -v[195:196]
	ds_read_b128 v[191:194], v247 offset:59392
	s_waitcnt lgkmcnt(0)
	s_barrier
	buffer_gl0_inv
	v_add_f64 v[237:238], v[187:188], v[191:192]
	v_add_f64 v[239:240], v[187:188], -v[191:192]
	v_add_f64 v[187:188], v[215:216], v[195:196]
	v_add_f64 v[235:236], v[189:190], -v[193:194]
	v_add_f64 v[241:242], v[189:190], v[193:194]
	v_add_f64 v[189:190], v[217:218], v[197:198]
	v_add_f64 v[215:216], v[191:192], -v[195:196]
	v_add_f64 v[195:196], v[195:196], -v[191:192]
	;; [unrolled: 1-line block ×4, first 2 shown]
	v_add_f64 v[191:192], v[187:188], v[191:192]
	v_add_f64 v[187:188], v[60:61], v[72:73]
	v_add_f64 v[60:61], v[60:61], -v[72:73]
	v_add_f64 v[72:73], v[149:150], v[161:162]
	v_add_f64 v[149:150], v[149:150], -v[161:162]
	v_fma_f64 v[161:162], v[44:45], s[16:17], v[64:65]
	v_add_f64 v[193:194], v[189:190], v[193:194]
	v_add_f64 v[189:190], v[62:63], v[74:75]
	v_add_f64 v[62:63], v[62:63], -v[74:75]
	v_add_f64 v[74:75], v[151:152], v[163:164]
	v_add_f64 v[151:152], v[151:152], -v[163:164]
	v_fma_f64 v[163:164], v[48:49], s[16:17], v[66:67]
	v_add_f64 v[64:65], v[161:162], v[68:69]
	v_add_f64 v[68:69], v[161:162], -v[68:69]
	v_add_f64 v[161:162], v[36:37], v[40:41]
	v_fma_f64 v[36:37], v[28:29], s[20:21], v[34:35]
	v_add_f64 v[66:67], v[163:164], v[70:71]
	v_add_f64 v[70:71], v[163:164], -v[70:71]
	v_add_f64 v[163:164], v[38:39], v[42:43]
	v_fma_f64 v[38:39], v[30:31], s[22:23], v[32:33]
	v_fma_f64 v[36:37], v[26:27], s[18:19], v[36:37]
	;; [unrolled: 1-line block ×5, first 2 shown]
	v_mul_f64 v[40:41], v[36:37], s[20:21]
	v_fma_f64 v[40:41], v[38:39], s[16:17], v[40:41]
	v_mul_f64 v[38:39], v[38:39], s[22:23]
	v_fma_f64 v[42:43], v[36:37], s[16:17], v[38:39]
	v_fma_f64 v[36:37], v[12:13], s[22:23], v[16:17]
	;; [unrolled: 1-line block ×5, first 2 shown]
	v_add_f64 v[44:45], v[108:109], v[116:117]
	v_add_f64 v[116:117], v[165:166], v[207:208]
	v_fma_f64 v[36:37], v[8:9], s[14:15], v[36:37]
	v_fma_f64 v[16:17], v[8:9], s[18:19], v[16:17]
	;; [unrolled: 1-line block ×7, first 2 shown]
	v_add_f64 v[36:37], v[54:55], v[40:41]
	v_add_f64 v[40:41], v[54:55], -v[40:41]
	v_fma_f64 v[54:55], v[161:162], s[16:17], v[16:17]
	v_fma_f64 v[16:17], v[14:15], s[22:23], v[18:19]
	v_add_f64 v[38:39], v[58:59], v[42:43]
	v_add_f64 v[42:43], v[58:59], -v[42:43]
	v_fma_f64 v[18:19], v[28:29], s[22:23], v[34:35]
	v_fma_f64 v[14:15], v[48:49], s[16:17], v[6:7]
	;; [unrolled: 1-line block ×3, first 2 shown]
	v_add_f64 v[56:57], v[136:137], v[141:142]
	v_add_f64 v[48:49], v[124:125], v[132:133]
	;; [unrolled: 1-line block ×3, first 2 shown]
	v_fma_f64 v[16:17], v[10:11], s[14:15], v[16:17]
	v_fma_f64 v[10:11], v[30:31], s[18:19], v[20:21]
	;; [unrolled: 1-line block ×7, first 2 shown]
	v_add_f64 v[52:53], v[120:121], v[128:129]
	v_add_f64 v[50:51], v[126:127], v[134:135]
	v_add_f64 v[120:121], v[223:224], v[215:216]
	v_add_f64 v[128:129], v[225:226], v[195:196]
	v_add_f64 v[126:127], v[155:156], v[171:172]
	v_fma_f64 v[16:17], v[24:25], s[18:19], v[16:17]
	v_mul_f64 v[6:7], v[10:11], s[28:29]
	v_fma_f64 v[16:17], v[46:47], s[16:17], v[16:17]
	v_fma_f64 v[8:9], v[4:5], s[14:15], v[6:7]
	v_mul_f64 v[4:5], v[4:5], s[28:29]
	v_add_f64 v[46:47], v[110:111], v[118:119]
	v_add_f64 v[118:119], v[167:168], v[209:210]
	v_mul_f64 v[32:33], v[16:17], s[26:27]
	v_fma_f64 v[10:11], v[10:11], s[18:19], v[4:5]
	v_add_f64 v[4:5], v[12:13], v[8:9]
	v_add_f64 v[8:9], v[12:13], -v[8:9]
	v_fma_f64 v[12:13], v[96:97], s[20:21], v[92:93]
	v_fma_f64 v[32:33], v[18:19], s[20:21], v[32:33]
	v_mul_f64 v[18:19], v[18:19], s[26:27]
	v_add_f64 v[6:7], v[14:15], v[10:11]
	v_add_f64 v[10:11], v[14:15], -v[10:11]
	v_fma_f64 v[14:15], v[98:99], s[22:23], v[94:95]
	v_fma_f64 v[12:13], v[102:103], s[14:15], v[12:13]
	v_fma_f64 v[34:35], v[16:17], s[22:23], v[18:19]
	v_add_f64 v[16:17], v[54:55], v[32:33]
	v_add_f64 v[32:33], v[54:55], -v[32:33]
	v_fma_f64 v[14:15], v[100:101], s[18:19], v[14:15]
	v_fma_f64 v[12:13], v[56:57], s[16:17], v[12:13]
	v_add_f64 v[54:55], v[122:123], v[130:131]
	v_add_f64 v[122:123], v[231:232], v[217:218]
	;; [unrolled: 1-line block ×4, first 2 shown]
	v_add_f64 v[34:35], v[58:59], -v[34:35]
	v_add_f64 v[58:59], v[138:139], v[143:144]
	ds_write_b128 v248, v[187:190]
	ds_write_b128 v248, v[64:67] offset:16
	ds_write_b128 v248, v[36:39] offset:32
	;; [unrolled: 1-line block ×9, first 2 shown]
	v_mul_f64 v[20:21], v[12:13], s[24:25]
	v_mul_f64 v[12:13], v[12:13], s[18:19]
	v_mul_u32_u24_e32 v4, 10, v115
	v_fma_f64 v[14:15], v[58:59], s[16:17], v[14:15]
	v_lshlrev_b32_e32 v246, 4, v4
	v_mul_u32_u24_e32 v4, 10, v114
	v_lshlrev_b32_e32 v245, 4, v4
	v_fma_f64 v[22:23], v[14:15], s[24:25], v[12:13]
	v_fma_f64 v[12:13], v[80:81], s[20:21], v[76:77]
	;; [unrolled: 1-line block ×14, first 2 shown]
	v_add_f64 v[12:13], v[24:25], v[20:21]
	v_add_f64 v[20:21], v[24:25], -v[20:21]
	v_fma_f64 v[24:25], v[100:101], s[20:21], v[106:107]
	v_add_f64 v[14:15], v[26:27], v[22:23]
	v_add_f64 v[22:23], v[26:27], -v[22:23]
	v_fma_f64 v[26:27], v[102:103], s[22:23], v[104:105]
	v_fma_f64 v[24:25], v[98:99], s[18:19], v[24:25]
	;; [unrolled: 1-line block ×5, first 2 shown]
	v_mul_f64 v[28:29], v[24:25], s[20:21]
	v_fma_f64 v[28:29], v[26:27], s[16:17], v[28:29]
	v_mul_f64 v[26:27], v[26:27], s[22:23]
	v_fma_f64 v[30:31], v[24:25], s[16:17], v[26:27]
	v_fma_f64 v[24:25], v[84:85], s[22:23], v[88:89]
	v_fma_f64 v[88:89], v[84:85], s[20:21], v[88:89]
	v_fma_f64 v[26:27], v[86:87], s[20:21], v[90:91]
	v_fma_f64 v[24:25], v[80:81], s[14:15], v[24:25]
	v_fma_f64 v[88:89], v[80:81], s[18:19], v[88:89]
	v_fma_f64 v[26:27], v[82:83], s[18:19], v[26:27]
	v_fma_f64 v[80:81], v[98:99], s[20:21], v[94:95]
	v_fma_f64 v[108:109], v[44:45], s[16:17], v[24:25]
	v_fma_f64 v[88:89], v[44:45], s[16:17], v[88:89]
	v_fma_f64 v[44:45], v[86:87], s[22:23], v[90:91]
	v_fma_f64 v[110:111], v[46:47], s[16:17], v[26:27]
	v_fma_f64 v[80:81], v[100:101], s[14:15], v[80:81]
	v_add_f64 v[24:25], v[108:109], v[28:29]
	v_add_f64 v[28:29], v[108:109], -v[28:29]
	v_fma_f64 v[44:45], v[82:83], s[14:15], v[44:45]
	v_fma_f64 v[108:109], v[219:220], -0.5, v[183:184]
	v_fma_f64 v[52:53], v[58:59], s[16:17], v[80:81]
	v_add_f64 v[26:27], v[110:111], v[30:31]
	v_add_f64 v[30:31], v[110:111], -v[30:31]
	v_fma_f64 v[110:111], v[227:228], -0.5, v[185:186]
	v_fma_f64 v[90:91], v[46:47], s[16:17], v[44:45]
	v_fma_f64 v[44:45], v[102:103], s[20:21], v[104:105]
	;; [unrolled: 1-line block ×3, first 2 shown]
	v_fma_f64 v[104:105], v[199:200], -0.5, v[0:1]
	v_fma_f64 v[106:107], v[201:202], -0.5, v[2:3]
	;; [unrolled: 1-line block ×3, first 2 shown]
	v_fma_f64 v[44:45], v[96:97], s[18:19], v[44:45]
	v_fma_f64 v[46:47], v[98:99], s[14:15], v[46:47]
	v_fma_f64 v[98:99], v[205:206], -0.5, v[2:3]
	v_add_f64 v[2:3], v[213:214], v[193:194]
	v_fma_f64 v[44:45], v[48:49], s[16:17], v[44:45]
	v_fma_f64 v[46:47], v[50:51], s[16:17], v[46:47]
	v_mul_f64 v[48:49], v[44:45], s[26:27]
	v_fma_f64 v[48:49], v[46:47], s[20:21], v[48:49]
	v_mul_f64 v[46:47], v[46:47], s[26:27]
	v_fma_f64 v[50:51], v[44:45], s[22:23], v[46:47]
	v_add_f64 v[44:45], v[88:89], v[48:49]
	v_add_f64 v[48:49], v[88:89], -v[48:49]
	v_fma_f64 v[88:89], v[96:97], s[22:23], v[92:93]
	v_fma_f64 v[96:97], v[203:204], -0.5, v[0:1]
	v_add_f64 v[0:1], v[211:212], v[191:192]
	v_add_f64 v[46:47], v[90:91], v[50:51]
	v_add_f64 v[50:51], v[90:91], -v[50:51]
	v_fma_f64 v[82:83], v[102:103], s[18:19], v[88:89]
	v_fma_f64 v[102:103], v[241:242], -0.5, v[185:186]
	v_fma_f64 v[56:57], v[56:57], s[16:17], v[82:83]
	v_fma_f64 v[82:83], v[239:240], s[22:23], v[110:111]
	;; [unrolled: 1-line block ×3, first 2 shown]
	v_mul_f64 v[54:55], v[56:57], s[28:29]
	v_fma_f64 v[82:83], v[229:230], s[18:19], v[82:83]
	v_fma_f64 v[110:111], v[229:230], s[14:15], v[110:111]
	;; [unrolled: 1-line block ×3, first 2 shown]
	v_mul_f64 v[52:53], v[52:53], s[28:29]
	v_fma_f64 v[82:83], v[122:123], s[16:17], v[82:83]
	v_fma_f64 v[80:81], v[56:57], s[18:19], v[52:53]
	v_add_f64 v[52:53], v[76:77], v[58:59]
	v_add_f64 v[56:57], v[76:77], -v[58:59]
	v_add_f64 v[76:77], v[211:212], -v[191:192]
	v_add_f64 v[54:55], v[78:79], v[80:81]
	v_add_f64 v[58:59], v[78:79], -v[80:81]
	v_fma_f64 v[80:81], v[235:236], s[20:21], v[108:109]
	v_fma_f64 v[108:109], v[235:236], s[22:23], v[108:109]
	v_add_f64 v[78:79], v[213:214], -v[193:194]
	ds_write_b128 v246, v[72:75]
	ds_write_b128 v246, v[12:15] offset:16
	ds_write_b128 v246, v[24:27] offset:32
	;; [unrolled: 1-line block ×9, first 2 shown]
	v_fma_f64 v[80:81], v[221:222], s[14:15], v[80:81]
	v_fma_f64 v[108:109], v[221:222], s[18:19], v[108:109]
	;; [unrolled: 1-line block ×4, first 2 shown]
	v_mul_f64 v[84:85], v[80:81], s[24:25]
	v_mul_f64 v[80:81], v[80:81], s[18:19]
	v_fma_f64 v[84:85], v[82:83], s[14:15], v[84:85]
	v_fma_f64 v[86:87], v[82:83], s[24:25], v[80:81]
	;; [unrolled: 1-line block ×15, first 2 shown]
	v_mul_f64 v[106:107], v[108:109], s[28:29]
	v_add_f64 v[80:81], v[88:89], v[84:85]
	v_add_f64 v[84:85], v[88:89], -v[84:85]
	v_fma_f64 v[88:89], v[229:230], s[20:21], v[102:103]
	v_add_f64 v[82:83], v[90:91], v[86:87]
	v_add_f64 v[86:87], v[90:91], -v[86:87]
	v_fma_f64 v[90:91], v[221:222], s[22:23], v[100:101]
	v_fma_f64 v[110:111], v[104:105], s[14:15], v[106:107]
	v_mul_f64 v[104:105], v[104:105], s[28:29]
	v_fma_f64 v[88:89], v[239:240], s[18:19], v[88:89]
	v_fma_f64 v[90:91], v[235:236], s[14:15], v[90:91]
	;; [unrolled: 1-line block ×3, first 2 shown]
	v_add_f64 v[104:105], v[116:117], v[110:111]
	v_add_f64 v[108:109], v[116:117], -v[110:111]
	v_fma_f64 v[88:89], v[130:131], s[16:17], v[88:89]
	v_fma_f64 v[90:91], v[128:129], s[16:17], v[90:91]
	v_add_f64 v[106:107], v[118:119], v[120:121]
	v_add_f64 v[110:111], v[118:119], -v[120:121]
	v_mul_f64 v[92:93], v[88:89], s[20:21]
	v_fma_f64 v[92:93], v[90:91], s[16:17], v[92:93]
	v_mul_f64 v[90:91], v[90:91], s[22:23]
	v_fma_f64 v[94:95], v[88:89], s[16:17], v[90:91]
	v_fma_f64 v[88:89], v[145:146], s[22:23], v[96:97]
	;; [unrolled: 1-line block ×12, first 2 shown]
	v_add_f64 v[88:89], v[132:133], v[92:93]
	v_add_f64 v[92:93], v[132:133], -v[92:93]
	v_fma_f64 v[96:97], v[159:160], s[14:15], v[96:97]
	v_add_f64 v[90:91], v[134:135], v[94:95]
	v_fma_f64 v[98:99], v[239:240], s[14:15], v[98:99]
	v_add_f64 v[94:95], v[134:135], -v[94:95]
	v_fma_f64 v[126:127], v[126:127], s[16:17], v[96:97]
	v_fma_f64 v[96:97], v[221:222], s[20:21], v[100:101]
	;; [unrolled: 1-line block ×5, first 2 shown]
	v_mul_f64 v[100:101], v[96:97], s[26:27]
	v_fma_f64 v[100:101], v[98:99], s[20:21], v[100:101]
	v_mul_f64 v[98:99], v[98:99], s[26:27]
	v_fma_f64 v[102:103], v[96:97], s[22:23], v[98:99]
	v_add_f64 v[96:97], v[124:125], v[100:101]
	v_add_f64 v[100:101], v[124:125], -v[100:101]
	v_add_f64 v[98:99], v[126:127], v[102:103]
	v_add_f64 v[102:103], v[126:127], -v[102:103]
	ds_write_b128 v245, v[0:3]
	ds_write_b128 v245, v[80:83] offset:16
	ds_write_b128 v245, v[88:91] offset:32
	;; [unrolled: 1-line block ×9, first 2 shown]
	v_mul_lo_u16 v0, 0x67, v253
	s_waitcnt lgkmcnt(0)
	s_barrier
	buffer_gl0_inv
	v_lshrrev_b16 v0, 10, v0
	v_mul_lo_u16 v1, v0, 10
	v_sub_nc_u16 v1, v253, v1
	v_and_b32_e32 v122, 0xff, v1
	v_mad_u64_u32 v[5:6], null, 0x50, v122, s[10:11]
	global_load_dwordx4 v[9:12], v[5:6], off
	s_waitcnt vmcnt(0)
	buffer_store_dword v9, off, s[36:39], 0 offset:544 ; 4-byte Folded Spill
	buffer_store_dword v10, off, s[36:39], 0 offset:548 ; 4-byte Folded Spill
	buffer_store_dword v11, off, s[36:39], 0 offset:552 ; 4-byte Folded Spill
	buffer_store_dword v12, off, s[36:39], 0 offset:556 ; 4-byte Folded Spill
	ds_read_b128 v[1:4], v247 offset:10240
	s_waitcnt lgkmcnt(0)
	v_mul_f64 v[7:8], v[3:4], v[11:12]
	v_fma_f64 v[25:26], v[1:2], v[9:10], -v[7:8]
	v_mul_f64 v[1:2], v[1:2], v[11:12]
	v_fma_f64 v[27:28], v[3:4], v[9:10], v[1:2]
	global_load_dwordx4 v[9:12], v[5:6], off offset:16
	s_waitcnt vmcnt(0)
	buffer_store_dword v9, off, s[36:39], 0 offset:560 ; 4-byte Folded Spill
	buffer_store_dword v10, off, s[36:39], 0 offset:564 ; 4-byte Folded Spill
	buffer_store_dword v11, off, s[36:39], 0 offset:568 ; 4-byte Folded Spill
	buffer_store_dword v12, off, s[36:39], 0 offset:572 ; 4-byte Folded Spill
	ds_read_b128 v[1:4], v247 offset:20480
	s_waitcnt lgkmcnt(0)
	v_mul_f64 v[7:8], v[3:4], v[11:12]
	v_fma_f64 v[29:30], v[1:2], v[9:10], -v[7:8]
	v_mul_f64 v[1:2], v[1:2], v[11:12]
	v_fma_f64 v[31:32], v[3:4], v[9:10], v[1:2]
	global_load_dwordx4 v[9:12], v[5:6], off offset:32
	;; [unrolled: 12-line block ×4, first 2 shown]
	s_waitcnt vmcnt(0)
	buffer_store_dword v7, off, s[36:39], 0 offset:608 ; 4-byte Folded Spill
	buffer_store_dword v8, off, s[36:39], 0 offset:612 ; 4-byte Folded Spill
	;; [unrolled: 1-line block ×4, first 2 shown]
	ds_read_b128 v[1:4], v247 offset:51200
	s_waitcnt lgkmcnt(0)
	v_mul_f64 v[5:6], v[3:4], v[9:10]
	v_fma_f64 v[41:42], v[1:2], v[7:8], -v[5:6]
	v_mul_f64 v[1:2], v[1:2], v[9:10]
	v_fma_f64 v[43:44], v[3:4], v[7:8], v[1:2]
	v_mul_lo_u16 v1, 0xcd, v115
	v_lshrrev_b16 v123, 11, v1
	v_mul_lo_u16 v1, v123, 10
	v_sub_nc_u16 v1, v115, v1
	v_and_b32_e32 v124, 0xff, v1
	v_mad_u64_u32 v[5:6], null, 0x50, v124, s[10:11]
	global_load_dwordx4 v[9:12], v[5:6], off
	s_waitcnt vmcnt(0)
	buffer_store_dword v9, off, s[36:39], 0 offset:624 ; 4-byte Folded Spill
	buffer_store_dword v10, off, s[36:39], 0 offset:628 ; 4-byte Folded Spill
	buffer_store_dword v11, off, s[36:39], 0 offset:632 ; 4-byte Folded Spill
	buffer_store_dword v12, off, s[36:39], 0 offset:636 ; 4-byte Folded Spill
	ds_read_b128 v[1:4], v247 offset:12288
	s_waitcnt lgkmcnt(0)
	v_mul_f64 v[7:8], v[3:4], v[11:12]
	v_fma_f64 v[45:46], v[1:2], v[9:10], -v[7:8]
	v_mul_f64 v[1:2], v[1:2], v[11:12]
	v_fma_f64 v[47:48], v[3:4], v[9:10], v[1:2]
	global_load_dwordx4 v[9:12], v[5:6], off offset:16
	s_waitcnt vmcnt(0)
	buffer_store_dword v9, off, s[36:39], 0 offset:640 ; 4-byte Folded Spill
	buffer_store_dword v10, off, s[36:39], 0 offset:644 ; 4-byte Folded Spill
	buffer_store_dword v11, off, s[36:39], 0 offset:648 ; 4-byte Folded Spill
	buffer_store_dword v12, off, s[36:39], 0 offset:652 ; 4-byte Folded Spill
	ds_read_b128 v[1:4], v247 offset:22528
	s_waitcnt lgkmcnt(0)
	v_mul_f64 v[7:8], v[3:4], v[11:12]
	v_fma_f64 v[53:54], v[1:2], v[9:10], -v[7:8]
	v_mul_f64 v[1:2], v[1:2], v[11:12]
	v_fma_f64 v[55:56], v[3:4], v[9:10], v[1:2]
	global_load_dwordx4 v[9:12], v[5:6], off offset:32
	;; [unrolled: 12-line block ×4, first 2 shown]
	s_waitcnt vmcnt(0)
	buffer_store_dword v7, off, s[36:39], 0 offset:688 ; 4-byte Folded Spill
	buffer_store_dword v8, off, s[36:39], 0 offset:692 ; 4-byte Folded Spill
	;; [unrolled: 1-line block ×4, first 2 shown]
	ds_read_b128 v[1:4], v247 offset:53248
	s_waitcnt lgkmcnt(0)
	v_mul_f64 v[5:6], v[3:4], v[9:10]
	v_fma_f64 v[69:70], v[1:2], v[7:8], -v[5:6]
	v_mul_f64 v[1:2], v[1:2], v[9:10]
	v_fma_f64 v[71:72], v[3:4], v[7:8], v[1:2]
	v_mul_u32_u24_e32 v1, 0x199a, v114
	v_lshrrev_b32_e32 v125, 16, v1
	v_mul_lo_u16 v1, v125, 10
	v_sub_nc_u16 v126, v114, v1
	v_mul_lo_u16 v1, 0x50, v126
	v_and_b32_e32 v1, 0xffff, v1
	v_add_co_u32 v5, s8, s10, v1
	v_add_co_ci_u32_e64 v6, null, s11, 0, s8
	global_load_dwordx4 v[9:12], v[5:6], off
	s_waitcnt vmcnt(0)
	buffer_store_dword v9, off, s[36:39], 0 offset:704 ; 4-byte Folded Spill
	buffer_store_dword v10, off, s[36:39], 0 offset:708 ; 4-byte Folded Spill
	buffer_store_dword v11, off, s[36:39], 0 offset:712 ; 4-byte Folded Spill
	buffer_store_dword v12, off, s[36:39], 0 offset:716 ; 4-byte Folded Spill
	ds_read_b128 v[1:4], v247 offset:14336
	s_waitcnt lgkmcnt(0)
	v_mul_f64 v[7:8], v[3:4], v[11:12]
	v_fma_f64 v[73:74], v[1:2], v[9:10], -v[7:8]
	v_mul_f64 v[1:2], v[1:2], v[11:12]
	v_fma_f64 v[75:76], v[3:4], v[9:10], v[1:2]
	global_load_dwordx4 v[9:12], v[5:6], off offset:16
	s_waitcnt vmcnt(0)
	buffer_store_dword v9, off, s[36:39], 0 offset:720 ; 4-byte Folded Spill
	buffer_store_dword v10, off, s[36:39], 0 offset:724 ; 4-byte Folded Spill
	buffer_store_dword v11, off, s[36:39], 0 offset:728 ; 4-byte Folded Spill
	buffer_store_dword v12, off, s[36:39], 0 offset:732 ; 4-byte Folded Spill
	ds_read_b128 v[1:4], v247 offset:24576
	s_waitcnt lgkmcnt(0)
	v_mul_f64 v[7:8], v[3:4], v[11:12]
	v_fma_f64 v[85:86], v[1:2], v[9:10], -v[7:8]
	v_mul_f64 v[1:2], v[1:2], v[11:12]
	v_fma_f64 v[87:88], v[3:4], v[9:10], v[1:2]
	global_load_dwordx4 v[9:12], v[5:6], off offset:32
	;; [unrolled: 12-line block ×4, first 2 shown]
	s_waitcnt vmcnt(0)
	buffer_store_dword v7, off, s[36:39], 0 offset:768 ; 4-byte Folded Spill
	buffer_store_dword v8, off, s[36:39], 0 offset:772 ; 4-byte Folded Spill
	;; [unrolled: 1-line block ×4, first 2 shown]
	ds_read_b128 v[1:4], v247 offset:55296
	s_waitcnt lgkmcnt(0)
	v_mul_f64 v[5:6], v[3:4], v[9:10]
	v_fma_f64 v[120:121], v[1:2], v[7:8], -v[5:6]
	v_mul_f64 v[1:2], v[1:2], v[9:10]
	v_fma_f64 v[131:132], v[3:4], v[7:8], v[1:2]
	v_mul_u32_u24_e32 v1, 0x199a, v113
	v_lshrrev_b32_e32 v127, 16, v1
	v_mul_lo_u16 v1, v127, 10
	v_sub_nc_u16 v128, v113, v1
	v_mul_lo_u16 v1, 0x50, v128
	v_and_b32_e32 v1, 0xffff, v1
	v_add_co_u32 v5, s8, s10, v1
	v_add_co_ci_u32_e64 v6, null, s11, 0, s8
	global_load_dwordx4 v[9:12], v[5:6], off
	s_waitcnt vmcnt(0)
	buffer_store_dword v9, off, s[36:39], 0 offset:784 ; 4-byte Folded Spill
	buffer_store_dword v10, off, s[36:39], 0 offset:788 ; 4-byte Folded Spill
	buffer_store_dword v11, off, s[36:39], 0 offset:792 ; 4-byte Folded Spill
	buffer_store_dword v12, off, s[36:39], 0 offset:796 ; 4-byte Folded Spill
	ds_read_b128 v[1:4], v247 offset:16384
	s_waitcnt lgkmcnt(0)
	v_mul_f64 v[7:8], v[3:4], v[11:12]
	v_fma_f64 v[133:134], v[1:2], v[9:10], -v[7:8]
	v_mul_f64 v[1:2], v[1:2], v[11:12]
	v_fma_f64 v[135:136], v[3:4], v[9:10], v[1:2]
	global_load_dwordx4 v[9:12], v[5:6], off offset:16
	s_waitcnt vmcnt(0)
	buffer_store_dword v9, off, s[36:39], 0 offset:800 ; 4-byte Folded Spill
	buffer_store_dword v10, off, s[36:39], 0 offset:804 ; 4-byte Folded Spill
	buffer_store_dword v11, off, s[36:39], 0 offset:808 ; 4-byte Folded Spill
	buffer_store_dword v12, off, s[36:39], 0 offset:812 ; 4-byte Folded Spill
	ds_read_b128 v[1:4], v247 offset:26624
	s_waitcnt lgkmcnt(0)
	v_mul_f64 v[7:8], v[3:4], v[11:12]
	v_fma_f64 v[137:138], v[1:2], v[9:10], -v[7:8]
	v_mul_f64 v[1:2], v[1:2], v[11:12]
	v_fma_f64 v[141:142], v[3:4], v[9:10], v[1:2]
	global_load_dwordx4 v[9:12], v[5:6], off offset:32
	;; [unrolled: 12-line block ×4, first 2 shown]
	s_waitcnt vmcnt(0)
	buffer_store_dword v7, off, s[36:39], 0 offset:848 ; 4-byte Folded Spill
	buffer_store_dword v8, off, s[36:39], 0 offset:852 ; 4-byte Folded Spill
	;; [unrolled: 1-line block ×4, first 2 shown]
	ds_read_b128 v[1:4], v247 offset:57344
	s_waitcnt lgkmcnt(0)
	v_mul_f64 v[5:6], v[3:4], v[9:10]
	v_fma_f64 v[151:152], v[1:2], v[7:8], -v[5:6]
	v_mul_f64 v[1:2], v[1:2], v[9:10]
	v_fma_f64 v[153:154], v[3:4], v[7:8], v[1:2]
	v_mul_u32_u24_e32 v1, 0x199a, v181
	v_lshrrev_b32_e32 v129, 16, v1
	v_mul_lo_u16 v1, v129, 10
	v_sub_nc_u16 v130, v181, v1
	v_mul_lo_u16 v1, 0x50, v130
	v_and_b32_e32 v1, 0xffff, v1
	v_add_co_u32 v5, s8, s10, v1
	v_add_co_ci_u32_e64 v6, null, s11, 0, s8
	s_mov_b32 s8, 0xe8584caa
	s_mov_b32 s9, 0x3febb67a
	;; [unrolled: 1-line block ×3, first 2 shown]
	global_load_dwordx4 v[9:12], v[5:6], off
	s_waitcnt vmcnt(0)
	buffer_store_dword v9, off, s[36:39], 0 offset:864 ; 4-byte Folded Spill
	buffer_store_dword v10, off, s[36:39], 0 offset:868 ; 4-byte Folded Spill
	buffer_store_dword v11, off, s[36:39], 0 offset:872 ; 4-byte Folded Spill
	buffer_store_dword v12, off, s[36:39], 0 offset:876 ; 4-byte Folded Spill
	ds_read_b128 v[1:4], v247 offset:18432
	s_waitcnt lgkmcnt(0)
	v_mul_f64 v[7:8], v[3:4], v[11:12]
	v_fma_f64 v[97:98], v[1:2], v[9:10], -v[7:8]
	v_mul_f64 v[1:2], v[1:2], v[11:12]
	v_fma_f64 v[99:100], v[3:4], v[9:10], v[1:2]
	global_load_dwordx4 v[9:12], v[5:6], off offset:16
	s_waitcnt vmcnt(0)
	buffer_store_dword v9, off, s[36:39], 0 offset:880 ; 4-byte Folded Spill
	buffer_store_dword v10, off, s[36:39], 0 offset:884 ; 4-byte Folded Spill
	buffer_store_dword v11, off, s[36:39], 0 offset:888 ; 4-byte Folded Spill
	buffer_store_dword v12, off, s[36:39], 0 offset:892 ; 4-byte Folded Spill
	ds_read_b128 v[1:4], v247 offset:28672
	s_waitcnt lgkmcnt(0)
	v_mul_f64 v[7:8], v[3:4], v[11:12]
	v_fma_f64 v[101:102], v[1:2], v[9:10], -v[7:8]
	v_mul_f64 v[1:2], v[1:2], v[11:12]
	v_fma_f64 v[103:104], v[3:4], v[9:10], v[1:2]
	global_load_dwordx4 v[9:12], v[5:6], off offset:32
	;; [unrolled: 12-line block ×4, first 2 shown]
	s_waitcnt vmcnt(0)
	buffer_store_dword v7, off, s[36:39], 0 offset:928 ; 4-byte Folded Spill
	buffer_store_dword v8, off, s[36:39], 0 offset:932 ; 4-byte Folded Spill
	;; [unrolled: 1-line block ×4, first 2 shown]
	ds_read_b128 v[1:4], v247 offset:59392
	s_waitcnt lgkmcnt(0)
	v_mul_f64 v[5:6], v[3:4], v[9:10]
	v_fma_f64 v[118:119], v[1:2], v[7:8], -v[5:6]
	v_mul_f64 v[1:2], v[1:2], v[9:10]
	v_add_f64 v[5:6], v[29:30], v[37:38]
	v_fma_f64 v[116:117], v[3:4], v[7:8], v[1:2]
	ds_read_b128 v[1:4], v247
	v_add_f64 v[7:8], v[27:28], v[35:36]
	s_waitcnt lgkmcnt(0)
	v_fma_f64 v[49:50], v[5:6], -0.5, v[1:2]
	v_add_f64 v[5:6], v[31:32], v[39:40]
	v_add_f64 v[1:2], v[1:2], v[29:30]
	;; [unrolled: 1-line block ×3, first 2 shown]
	v_add_f64 v[29:30], v[29:30], -v[37:38]
	v_fma_f64 v[51:52], v[5:6], -0.5, v[3:4]
	v_add_f64 v[5:6], v[25:26], v[33:34]
	v_add_f64 v[3:4], v[3:4], v[31:32]
	;; [unrolled: 1-line block ×3, first 2 shown]
	v_add_f64 v[37:38], v[35:36], -v[43:44]
	v_add_f64 v[31:32], v[31:32], -v[39:40]
	v_add_f64 v[5:6], v[5:6], v[41:42]
	v_add_f64 v[3:4], v[3:4], v[39:40]
	;; [unrolled: 1-line block ×3, first 2 shown]
	v_add_f64 v[17:18], v[1:2], -v[5:6]
	v_add_f64 v[5:6], v[53:54], v[65:66]
	v_add_f64 v[23:24], v[3:4], v[7:8]
	v_add_f64 v[19:20], v[3:4], -v[7:8]
	ds_read_b128 v[1:4], v247 offset:2048
	v_add_f64 v[7:8], v[47:48], v[59:60]
	s_waitcnt lgkmcnt(0)
	v_fma_f64 v[77:78], v[5:6], -0.5, v[1:2]
	v_add_f64 v[5:6], v[55:56], v[67:68]
	v_add_f64 v[1:2], v[1:2], v[53:54]
	v_add_f64 v[7:8], v[7:8], v[71:72]
	v_fma_f64 v[79:80], v[5:6], -0.5, v[3:4]
	v_add_f64 v[5:6], v[45:46], v[57:58]
	v_add_f64 v[3:4], v[3:4], v[55:56]
	;; [unrolled: 1-line block ×6, first 2 shown]
	v_add_f64 v[9:10], v[1:2], -v[5:6]
	v_add_f64 v[5:6], v[85:86], v[93:94]
	v_add_f64 v[15:16], v[3:4], v[7:8]
	v_add_f64 v[11:12], v[3:4], -v[7:8]
	ds_read_b128 v[1:4], v247 offset:4096
	s_waitcnt lgkmcnt(0)
	v_fma_f64 v[155:156], v[5:6], -0.5, v[1:2]
	v_add_f64 v[5:6], v[87:88], v[95:96]
	v_add_f64 v[1:2], v[1:2], v[85:86]
	v_fma_f64 v[157:158], v[5:6], -0.5, v[3:4]
	v_add_f64 v[5:6], v[73:74], v[89:90]
	v_add_f64 v[1:2], v[1:2], v[93:94]
	;; [unrolled: 1-line block ×8, first 2 shown]
	v_add_f64 v[1:2], v[1:2], -v[61:62]
	v_add_f64 v[61:62], v[33:34], v[41:42]
	v_add_f64 v[41:42], v[33:34], -v[41:42]
	v_add_f64 v[33:34], v[35:36], v[43:44]
	v_fma_f64 v[43:44], v[29:30], s[12:13], v[51:52]
	v_fma_f64 v[29:30], v[29:30], s[8:9], v[51:52]
	v_add_f64 v[7:8], v[3:4], v[63:64]
	v_add_f64 v[3:4], v[3:4], -v[63:64]
	v_fma_f64 v[25:26], v[61:62], -0.5, v[25:26]
	v_fma_f64 v[27:28], v[33:34], -0.5, v[27:28]
	v_fma_f64 v[35:36], v[37:38], s[8:9], v[25:26]
	v_fma_f64 v[25:26], v[37:38], s[12:13], v[25:26]
	;; [unrolled: 1-line block ×4, first 2 shown]
	v_add_f64 v[41:42], v[53:54], -v[65:66]
	v_add_f64 v[65:66], v[91:92], -v[131:132]
	v_mul_f64 v[37:38], v[25:26], -0.5
	v_mul_f64 v[39:40], v[33:34], s[8:9]
	v_fma_f64 v[37:38], v[27:28], s[8:9], v[37:38]
	v_mul_f64 v[27:28], v[27:28], -0.5
	v_fma_f64 v[39:40], v[35:36], 0.5, v[39:40]
	v_mul_f64 v[35:36], v[35:36], s[12:13]
	v_fma_f64 v[25:26], v[25:26], s[12:13], v[27:28]
	v_add_f64 v[27:28], v[57:58], -v[69:70]
	v_fma_f64 v[35:36], v[33:34], 0.5, v[35:36]
	v_fma_f64 v[33:34], v[31:32], s[8:9], v[49:50]
	v_fma_f64 v[31:32], v[31:32], s[12:13], v[49:50]
	v_add_f64 v[83:84], v[29:30], v[25:26]
	v_add_f64 v[51:52], v[29:30], -v[25:26]
	v_add_f64 v[25:26], v[57:58], v[69:70]
	v_add_f64 v[29:30], v[59:60], v[71:72]
	;; [unrolled: 1-line block ×3, first 2 shown]
	v_add_f64 v[35:36], v[43:44], -v[35:36]
	v_add_f64 v[81:82], v[31:32], v[37:38]
	v_add_f64 v[49:50], v[31:32], -v[37:38]
	v_add_f64 v[43:44], v[59:60], -v[71:72]
	v_add_f64 v[61:62], v[33:34], v[39:40]
	v_add_f64 v[33:34], v[33:34], -v[39:40]
	v_add_f64 v[39:40], v[55:56], -v[67:68]
	v_fma_f64 v[25:26], v[25:26], -0.5, v[45:46]
	v_fma_f64 v[37:38], v[29:30], -0.5, v[47:48]
	v_fma_f64 v[47:48], v[41:42], s[12:13], v[79:80]
	v_fma_f64 v[41:42], v[41:42], s[8:9], v[79:80]
	;; [unrolled: 1-line block ×6, first 2 shown]
	v_add_f64 v[43:44], v[85:86], -v[93:94]
	v_mul_f64 v[45:46], v[29:30], s[8:9]
	v_mul_f64 v[37:38], v[25:26], -0.5
	v_fma_f64 v[71:72], v[43:44], s[12:13], v[157:158]
	v_fma_f64 v[43:44], v[43:44], s[8:9], v[157:158]
	v_fma_f64 v[45:46], v[31:32], 0.5, v[45:46]
	v_mul_f64 v[31:32], v[31:32], s[12:13]
	v_fma_f64 v[37:38], v[27:28], s[8:9], v[37:38]
	v_mul_f64 v[27:28], v[27:28], -0.5
	v_fma_f64 v[31:32], v[29:30], 0.5, v[31:32]
	v_fma_f64 v[29:30], v[39:40], s[8:9], v[77:78]
	v_fma_f64 v[25:26], v[25:26], s[12:13], v[27:28]
	;; [unrolled: 1-line block ×3, first 2 shown]
	v_add_f64 v[27:28], v[91:92], v[131:132]
	v_add_f64 v[131:132], v[137:138], -v[147:148]
	v_add_f64 v[59:60], v[47:48], v[31:32]
	v_add_f64 v[31:32], v[47:48], -v[31:32]
	;; [unrolled: 2-line block ×3, first 2 shown]
	v_add_f64 v[25:26], v[89:90], v[120:121]
	v_add_f64 v[57:58], v[29:30], v[45:46]
	v_add_f64 v[29:30], v[29:30], -v[45:46]
	v_add_f64 v[77:78], v[39:40], v[37:38]
	v_add_f64 v[45:46], v[39:40], -v[37:38]
	v_add_f64 v[37:38], v[89:90], -v[120:121]
	v_fma_f64 v[39:40], v[27:28], -0.5, v[75:76]
	v_add_f64 v[41:42], v[87:88], -v[95:96]
	v_add_f64 v[95:96], v[143:144], -v[151:152]
	;; [unrolled: 1-line block ×3, first 2 shown]
	v_fma_f64 v[67:68], v[25:26], -0.5, v[73:74]
	v_fma_f64 v[25:26], v[37:38], s[12:13], v[39:40]
	v_fma_f64 v[37:38], v[37:38], s[8:9], v[39:40]
	;; [unrolled: 1-line block ×4, first 2 shown]
	v_mul_f64 v[53:54], v[25:26], s[8:9]
	v_mul_f64 v[39:40], v[65:66], -0.5
	v_fma_f64 v[69:70], v[27:28], 0.5, v[53:54]
	v_mul_f64 v[27:28], v[27:28], s[12:13]
	v_fma_f64 v[39:40], v[37:38], s[8:9], v[39:40]
	v_mul_f64 v[37:38], v[37:38], -0.5
	v_fma_f64 v[27:28], v[25:26], 0.5, v[27:28]
	v_fma_f64 v[25:26], v[41:42], s[8:9], v[155:156]
	v_fma_f64 v[41:42], v[41:42], s[12:13], v[155:156]
	;; [unrolled: 1-line block ×3, first 2 shown]
	v_add_f64 v[65:66], v[137:138], v[147:148]
	v_add_f64 v[55:56], v[71:72], v[27:28]
	;; [unrolled: 1-line block ×4, first 2 shown]
	v_add_f64 v[41:42], v[41:42], -v[39:40]
	v_add_f64 v[25:26], v[25:26], -v[69:70]
	;; [unrolled: 1-line block ×3, first 2 shown]
	v_add_f64 v[75:76], v[43:44], v[37:38]
	v_add_f64 v[43:44], v[43:44], -v[37:38]
	ds_read_b128 v[37:40], v247 offset:6144
	s_waitcnt lgkmcnt(0)
	v_fma_f64 v[85:86], v[65:66], -0.5, v[37:38]
	v_add_f64 v[65:66], v[141:142], v[149:150]
	v_add_f64 v[37:38], v[37:38], v[137:138]
	v_fma_f64 v[87:88], v[65:66], -0.5, v[39:40]
	v_add_f64 v[65:66], v[133:134], v[143:144]
	v_add_f64 v[37:38], v[37:38], v[147:148]
	;; [unrolled: 1-line block ×3, first 2 shown]
	v_fma_f64 v[141:142], v[131:132], s[12:13], v[87:88]
	v_add_f64 v[69:70], v[65:66], v[151:152]
	v_add_f64 v[65:66], v[135:136], v[145:146]
	;; [unrolled: 1-line block ×3, first 2 shown]
	v_fma_f64 v[87:88], v[131:132], s[8:9], v[87:88]
	v_add_f64 v[71:72], v[65:66], v[153:154]
	v_add_f64 v[65:66], v[37:38], v[69:70]
	v_add_f64 v[37:38], v[37:38], -v[69:70]
	v_add_f64 v[69:70], v[145:146], v[153:154]
	v_add_f64 v[67:68], v[39:40], v[71:72]
	v_add_f64 v[39:40], v[39:40], -v[71:72]
	v_fma_f64 v[93:94], v[69:70], -0.5, v[135:136]
	v_add_f64 v[69:70], v[143:144], v[151:152]
	v_add_f64 v[135:136], v[145:146], -v[153:154]
	v_fma_f64 v[133:134], v[69:70], -0.5, v[133:134]
	v_fma_f64 v[69:70], v[95:96], s[12:13], v[93:94]
	v_fma_f64 v[93:94], v[95:96], s[8:9], v[93:94]
	;; [unrolled: 1-line block ×3, first 2 shown]
	v_mul_f64 v[89:90], v[69:70], s[8:9]
	v_fma_f64 v[133:134], v[135:136], s[12:13], v[133:134]
	v_add_f64 v[135:136], v[103:104], v[111:112]
	v_fma_f64 v[137:138], v[71:72], 0.5, v[89:90]
	v_mul_f64 v[71:72], v[71:72], s[12:13]
	v_mul_f64 v[95:96], v[133:134], -0.5
	v_fma_f64 v[71:72], v[69:70], 0.5, v[71:72]
	v_fma_f64 v[69:70], v[120:121], s[8:9], v[85:86]
	v_fma_f64 v[85:86], v[120:121], s[12:13], v[85:86]
	;; [unrolled: 1-line block ×3, first 2 shown]
	v_mul_f64 v[93:94], v[93:94], -0.5
	v_add_f64 v[91:92], v[141:142], v[71:72]
	v_add_f64 v[71:72], v[141:142], -v[71:72]
	v_add_f64 v[89:90], v[69:70], v[137:138]
	v_add_f64 v[69:70], v[69:70], -v[137:138]
	v_fma_f64 v[131:132], v[133:134], s[12:13], v[93:94]
	v_add_f64 v[93:94], v[85:86], v[120:121]
	v_add_f64 v[85:86], v[85:86], -v[120:121]
	v_add_f64 v[120:121], v[101:102], v[109:110]
	v_add_f64 v[95:96], v[87:88], v[131:132]
	v_add_f64 v[87:88], v[87:88], -v[131:132]
	ds_read_b128 v[131:134], v247 offset:8192
	s_waitcnt lgkmcnt(0)
	v_fma_f64 v[120:121], v[120:121], -0.5, v[131:132]
	v_add_f64 v[131:132], v[131:132], v[101:102]
	v_fma_f64 v[141:142], v[135:136], -0.5, v[133:134]
	v_add_f64 v[133:134], v[133:134], v[103:104]
	v_add_f64 v[135:136], v[131:132], v[109:110]
	;; [unrolled: 1-line block ×4, first 2 shown]
	v_add_f64 v[111:112], v[103:104], -v[111:112]
	v_add_f64 v[109:110], v[101:102], -v[109:110]
	v_add_f64 v[143:144], v[131:132], v[118:119]
	v_add_f64 v[131:132], v[99:100], v[105:106]
	;; [unrolled: 1-line block ×4, first 2 shown]
	v_add_f64 v[135:136], v[135:136], -v[143:144]
	v_add_f64 v[143:144], v[105:106], v[116:117]
	v_add_f64 v[105:106], v[105:106], -v[116:117]
	v_fma_f64 v[116:117], v[111:112], s[8:9], v[120:121]
	v_fma_f64 v[111:112], v[111:112], s[12:13], v[120:121]
	v_mov_b32_e32 v121, 4
	v_mul_u32_u24_e32 v120, 0x445, v180
	v_lshrrev_b32_e32 v150, 16, v120
	v_add_f64 v[133:134], v[137:138], v[145:146]
	v_add_f64 v[137:138], v[137:138], -v[145:146]
	v_fma_f64 v[145:146], v[109:110], s[12:13], v[141:142]
	v_fma_f64 v[143:144], v[143:144], -0.5, v[99:100]
	v_add_f64 v[99:100], v[107:108], v[118:119]
	v_add_f64 v[107:108], v[107:108], -v[118:119]
	v_fma_f64 v[118:119], v[99:100], -0.5, v[97:98]
	v_fma_f64 v[97:98], v[107:108], s[12:13], v[143:144]
	v_fma_f64 v[107:108], v[107:108], s[8:9], v[143:144]
	;; [unrolled: 1-line block ×3, first 2 shown]
	v_mul_f64 v[101:102], v[97:98], s[8:9]
	v_fma_f64 v[105:106], v[105:106], s[12:13], v[118:119]
	v_fma_f64 v[101:102], v[99:100], 0.5, v[101:102]
	v_mul_f64 v[99:100], v[99:100], s[12:13]
	v_fma_f64 v[103:104], v[97:98], 0.5, v[99:100]
	v_add_f64 v[97:98], v[116:117], v[101:102]
	v_add_f64 v[101:102], v[116:117], -v[101:102]
	v_fma_f64 v[116:117], v[109:110], s[8:9], v[141:142]
	v_mul_f64 v[109:110], v[105:106], -0.5
	v_add_f64 v[99:100], v[145:146], v[103:104]
	v_add_f64 v[103:104], v[145:146], -v[103:104]
	v_fma_f64 v[109:110], v[107:108], s[8:9], v[109:110]
	v_mul_f64 v[107:108], v[107:108], -0.5
	v_fma_f64 v[118:119], v[105:106], s[12:13], v[107:108]
	v_add_f64 v[105:106], v[111:112], v[109:110]
	v_add_f64 v[109:110], v[111:112], -v[109:110]
	v_add_f64 v[107:108], v[116:117], v[118:119]
	v_add_f64 v[111:112], v[116:117], -v[118:119]
	v_mov_b32_e32 v116, 60
	v_mul_u32_u24_sdwa v0, v0, v116 dst_sel:DWORD dst_unused:UNUSED_PAD src0_sel:WORD_0 src1_sel:DWORD
	v_add_lshl_u32 v0, v0, v122, 4
	v_mul_u32_u24_e32 v122, 0x889, v179
	buffer_store_dword v0, off, s[36:39], 0 offset:960 ; 4-byte Folded Spill
	s_waitcnt_vscnt null, 0x0
	s_barrier
	buffer_gl0_inv
	ds_write_b128 v0, v[21:24]
	ds_write_b128 v0, v[61:64] offset:160
	ds_write_b128 v0, v[81:84] offset:320
	;; [unrolled: 1-line block ×5, first 2 shown]
	v_mul_u32_u24_sdwa v0, v123, v116 dst_sel:DWORD dst_unused:UNUSED_PAD src0_sel:WORD_0 src1_sel:DWORD
	v_mul_u32_u24_e32 v123, 0x889, v175
	v_add_lshl_u32 v0, v0, v124, 4
	v_mul_u32_u24_e32 v124, 0x889, v174
	buffer_store_dword v0, off, s[36:39], 0 offset:956 ; 4-byte Folded Spill
	ds_write_b128 v0, v[13:16]
	ds_write_b128 v0, v[57:60] offset:160
	ds_write_b128 v0, v[77:80] offset:320
	;; [unrolled: 1-line block ×5, first 2 shown]
	v_mad_u16 v0, v125, 60, v126
	v_mul_u32_u24_e32 v126, 0x889, v176
	v_mul_u32_u24_e32 v125, 0x889, v177
	v_lshlrev_b32_sdwa v0, v121, v0 dst_sel:DWORD dst_unused:UNUSED_PAD src0_sel:DWORD src1_sel:WORD_0
	v_lshrrev_b32_e32 v141, 17, v126
	buffer_store_dword v0, off, s[36:39], 0 offset:952 ; 4-byte Folded Spill
	ds_write_b128 v0, v[5:8]
	ds_write_b128 v0, v[53:56] offset:160
	ds_write_b128 v0, v[73:76] offset:320
	;; [unrolled: 1-line block ×5, first 2 shown]
	v_mad_u16 v0, v127, 60, v128
	v_mul_u32_u24_e32 v128, 0x889, v178
	v_mul_u32_u24_e32 v127, 0x889, v173
	v_lshlrev_b32_sdwa v0, v121, v0 dst_sel:DWORD dst_unused:UNUSED_PAD src0_sel:DWORD src1_sel:WORD_0
	v_lshrrev_b32_e32 v146, 17, v128
	v_lshrrev_b32_e32 v143, 17, v127
	buffer_store_dword v0, off, s[36:39], 0 offset:948 ; 4-byte Folded Spill
	ds_write_b128 v0, v[65:68]
	ds_write_b128 v0, v[89:92] offset:160
	ds_write_b128 v0, v[93:96] offset:320
	;; [unrolled: 1-line block ×5, first 2 shown]
	v_mad_u16 v0, v129, 60, v130
	v_mul_u32_u24_e32 v130, 0x445, v182
	v_mul_u32_u24_e32 v129, 0x445, v140
	v_lshlrev_b32_sdwa v0, v121, v0 dst_sel:DWORD dst_unused:UNUSED_PAD src0_sel:DWORD src1_sel:WORD_0
	v_lshrrev_b32_e32 v152, 16, v130
	v_lshrrev_b32_e32 v148, 16, v129
	buffer_store_dword v0, off, s[36:39], 0 offset:944 ; 4-byte Folded Spill
	ds_write_b128 v0, v[131:134]
	ds_write_b128 v0, v[97:100] offset:160
	ds_write_b128 v0, v[105:108] offset:320
	;; [unrolled: 1-line block ×5, first 2 shown]
	v_mul_lo_u16 v0, 0x89, v253
	s_waitcnt lgkmcnt(0)
	s_waitcnt_vscnt null, 0x0
	s_barrier
	buffer_gl0_inv
	v_mul_lo_u16 v132, 0x89, v115
	v_lshrrev_b16 v0, 13, v0
	v_mul_u32_u24_e32 v131, 0x445, v181
	v_lshrrev_b32_e32 v138, 17, v125
	v_lshrrev_b32_e32 v136, 17, v124
	v_lshrrev_b16 v145, 13, v132
	v_mul_lo_u16 v1, v0, 60
	v_lshrrev_b32_e32 v154, 16, v131
	v_lshrrev_b32_e32 v135, 17, v123
	;; [unrolled: 1-line block ×3, first 2 shown]
	v_sub_nc_u16 v1, v253, v1
	v_and_b32_e32 v133, 0xff, v1
	v_lshlrev_b32_e32 v1, 4, v133
	global_load_dwordx4 v[7:10], v1, s[10:11] offset:800
	s_waitcnt vmcnt(0)
	buffer_store_dword v7, off, s[36:39], 0 offset:964 ; 4-byte Folded Spill
	buffer_store_dword v8, off, s[36:39], 0 offset:968 ; 4-byte Folded Spill
	buffer_store_dword v9, off, s[36:39], 0 offset:972 ; 4-byte Folded Spill
	buffer_store_dword v10, off, s[36:39], 0 offset:976 ; 4-byte Folded Spill
	ds_read_b128 v[1:4], v247 offset:30720
	s_waitcnt lgkmcnt(0)
	v_mul_f64 v[5:6], v[3:4], v[9:10]
	v_fma_f64 v[5:6], v[1:2], v[7:8], -v[5:6]
	v_mul_f64 v[1:2], v[1:2], v[9:10]
	v_fma_f64 v[7:8], v[3:4], v[7:8], v[1:2]
	v_mul_lo_u16 v1, v145, 60
	v_sub_nc_u16 v1, v115, v1
	v_and_b32_e32 v158, 0xff, v1
	v_lshlrev_b32_e32 v1, 4, v158
	global_load_dwordx4 v[11:14], v1, s[10:11] offset:800
	s_waitcnt vmcnt(0)
	buffer_store_dword v11, off, s[36:39], 0 offset:980 ; 4-byte Folded Spill
	buffer_store_dword v12, off, s[36:39], 0 offset:984 ; 4-byte Folded Spill
	;; [unrolled: 1-line block ×4, first 2 shown]
	ds_read_b128 v[1:4], v247 offset:32768
	s_waitcnt lgkmcnt(0)
	v_mul_f64 v[9:10], v[3:4], v[13:14]
	v_fma_f64 v[9:10], v[1:2], v[11:12], -v[9:10]
	v_mul_f64 v[1:2], v[1:2], v[13:14]
	v_fma_f64 v[11:12], v[3:4], v[11:12], v[1:2]
	v_mul_u32_u24_e32 v1, 0x445, v114
	v_lshrrev_b32_e32 v159, 16, v1
	v_mul_lo_u16 v1, v159, 60
	v_sub_nc_u16 v162, v114, v1
	v_lshlrev_b32_sdwa v1, v121, v162 dst_sel:DWORD dst_unused:UNUSED_PAD src0_sel:DWORD src1_sel:WORD_0
	global_load_dwordx4 v[15:18], v1, s[10:11] offset:800
	s_waitcnt vmcnt(0)
	buffer_store_dword v15, off, s[36:39], 0 offset:996 ; 4-byte Folded Spill
	buffer_store_dword v16, off, s[36:39], 0 offset:1000 ; 4-byte Folded Spill
	buffer_store_dword v17, off, s[36:39], 0 offset:1004 ; 4-byte Folded Spill
	buffer_store_dword v18, off, s[36:39], 0 offset:1008 ; 4-byte Folded Spill
	ds_read_b128 v[1:4], v247 offset:34816
	s_waitcnt lgkmcnt(0)
	v_mul_f64 v[13:14], v[3:4], v[17:18]
	v_fma_f64 v[13:14], v[1:2], v[15:16], -v[13:14]
	v_mul_f64 v[1:2], v[1:2], v[17:18]
	v_fma_f64 v[15:16], v[3:4], v[15:16], v[1:2]
	v_mul_u32_u24_e32 v1, 0x445, v113
	v_lshrrev_b32_e32 v156, 16, v1
	v_mul_lo_u16 v1, v156, 60
	v_sub_nc_u16 v161, v113, v1
	v_lshlrev_b32_sdwa v1, v121, v161 dst_sel:DWORD dst_unused:UNUSED_PAD src0_sel:DWORD src1_sel:WORD_0
	global_load_dwordx4 v[19:22], v1, s[10:11] offset:800
	s_waitcnt vmcnt(0)
	buffer_store_dword v19, off, s[36:39], 0 offset:1012 ; 4-byte Folded Spill
	buffer_store_dword v20, off, s[36:39], 0 offset:1016 ; 4-byte Folded Spill
	buffer_store_dword v21, off, s[36:39], 0 offset:1020 ; 4-byte Folded Spill
	buffer_store_dword v22, off, s[36:39], 0 offset:1024 ; 4-byte Folded Spill
	ds_read_b128 v[1:4], v247 offset:36864
	s_waitcnt lgkmcnt(0)
	v_mul_f64 v[17:18], v[3:4], v[21:22]
	v_fma_f64 v[17:18], v[1:2], v[19:20], -v[17:18]
	v_mul_f64 v[1:2], v[1:2], v[21:22]
	v_fma_f64 v[19:20], v[3:4], v[19:20], v[1:2]
	v_mul_lo_u16 v1, v154, 60
	v_sub_nc_u16 v160, v181, v1
	v_lshlrev_b32_sdwa v1, v121, v160 dst_sel:DWORD dst_unused:UNUSED_PAD src0_sel:DWORD src1_sel:WORD_0
	global_load_dwordx4 v[23:26], v1, s[10:11] offset:800
	s_waitcnt vmcnt(0)
	buffer_store_dword v23, off, s[36:39], 0 offset:1028 ; 4-byte Folded Spill
	buffer_store_dword v24, off, s[36:39], 0 offset:1032 ; 4-byte Folded Spill
	buffer_store_dword v25, off, s[36:39], 0 offset:1036 ; 4-byte Folded Spill
	buffer_store_dword v26, off, s[36:39], 0 offset:1040 ; 4-byte Folded Spill
	ds_read_b128 v[1:4], v247 offset:38912
	s_waitcnt lgkmcnt(0)
	v_mul_f64 v[21:22], v[3:4], v[25:26]
	v_fma_f64 v[21:22], v[1:2], v[23:24], -v[21:22]
	v_mul_f64 v[1:2], v[1:2], v[25:26]
	v_fma_f64 v[23:24], v[3:4], v[23:24], v[1:2]
	;; [unrolled: 15-line block ×12, first 2 shown]
	ds_read_b128 v[1:4], v247
	s_waitcnt lgkmcnt(0)
	v_add_f64 v[105:106], v[1:2], -v[5:6]
	v_add_f64 v[107:108], v[3:4], -v[7:8]
	ds_read_b128 v[5:8], v247 offset:26624
	v_fma_f64 v[109:110], v[1:2], 2.0, -v[105:106]
	v_fma_f64 v[111:112], v[3:4], 2.0, -v[107:108]
	ds_read_b128 v[1:4], v247 offset:2048
	s_waitcnt lgkmcnt(0)
	v_add_f64 v[97:98], v[1:2], -v[9:10]
	v_add_f64 v[99:100], v[3:4], -v[11:12]
	v_fma_f64 v[101:102], v[1:2], 2.0, -v[97:98]
	v_fma_f64 v[103:104], v[3:4], 2.0, -v[99:100]
	ds_read_b128 v[1:4], v247 offset:4096
	s_waitcnt lgkmcnt(0)
	v_add_f64 v[89:90], v[1:2], -v[13:14]
	v_add_f64 v[91:92], v[3:4], -v[15:16]
	;; [unrolled: 6-line block ×9, first 2 shown]
	ds_read_b128 v[163:166], v247 offset:28672
	v_fma_f64 v[37:38], v[1:2], 2.0, -v[33:34]
	v_fma_f64 v[39:40], v[3:4], 2.0, -v[35:36]
	ds_read_b128 v[1:4], v247 offset:20480
	s_waitcnt lgkmcnt(0)
	v_add_f64 v[25:26], v[1:2], -v[167:168]
	v_add_f64 v[27:28], v[3:4], -v[169:170]
	;; [unrolled: 1-line block ×4, first 2 shown]
	v_fma_f64 v[29:30], v[1:2], 2.0, -v[25:26]
	v_fma_f64 v[31:32], v[3:4], 2.0, -v[27:28]
	ds_read_b128 v[1:4], v247 offset:22528
	v_fma_f64 v[116:117], v[163:164], 2.0, -v[167:168]
	v_mov_b32_e32 v163, 0x78
	v_fma_f64 v[118:119], v[165:166], 2.0, -v[169:170]
	v_mul_u32_u24_sdwa v0, v0, v163 dst_sel:DWORD dst_unused:UNUSED_PAD src0_sel:WORD_0 src1_sel:DWORD
	v_add_lshl_u32 v0, v0, v133, 4
	v_lshrrev_b32_e32 v133, 18, v123
	buffer_store_dword v0, off, s[36:39], 0 offset:1252 ; 4-byte Folded Spill
	s_waitcnt lgkmcnt(0)
	v_add_f64 v[17:18], v[1:2], -v[171:172]
	v_add_f64 v[19:20], v[3:4], -v[183:184]
	v_fma_f64 v[21:22], v[1:2], 2.0, -v[17:18]
	v_fma_f64 v[23:24], v[3:4], 2.0, -v[19:20]
	ds_read_b128 v[1:4], v247 offset:24576
	s_waitcnt lgkmcnt(0)
	s_waitcnt_vscnt null, 0x0
	s_barrier
	buffer_gl0_inv
	ds_write_b128 v0, v[105:108] offset:960
	ds_write_b128 v0, v[109:112]
	v_mul_u32_u24_sdwa v0, v145, v163 dst_sel:DWORD dst_unused:UNUSED_PAD src0_sel:WORD_0 src1_sel:DWORD
	v_add_lshl_u32 v0, v0, v158, 4
	buffer_store_dword v0, off, s[36:39], 0 offset:1260 ; 4-byte Folded Spill
	ds_write_b128 v0, v[101:104]
	ds_write_b128 v0, v[97:100] offset:960
	v_mad_u16 v0, 0x78, v159, v162
	v_add_f64 v[9:10], v[1:2], -v[185:186]
	v_add_f64 v[11:12], v[3:4], -v[187:188]
	v_lshlrev_b32_sdwa v0, v121, v0 dst_sel:DWORD dst_unused:UNUSED_PAD src0_sel:DWORD src1_sel:WORD_0
	buffer_store_dword v0, off, s[36:39], 0 offset:1256 ; 4-byte Folded Spill
	ds_write_b128 v0, v[93:96]
	ds_write_b128 v0, v[89:92] offset:960
	v_mad_u16 v0, 0x78, v156, v161
	v_lshlrev_b32_sdwa v0, v121, v0 dst_sel:DWORD dst_unused:UNUSED_PAD src0_sel:DWORD src1_sel:WORD_0
	buffer_store_dword v0, off, s[36:39], 0 offset:1248 ; 4-byte Folded Spill
	ds_write_b128 v0, v[85:88]
	ds_write_b128 v0, v[81:84] offset:960
	v_mad_u16 v0, 0x78, v154, v160
	v_fma_f64 v[13:14], v[1:2], 2.0, -v[9:10]
	v_fma_f64 v[15:16], v[3:4], 2.0, -v[11:12]
	v_add_f64 v[1:2], v[5:6], -v[189:190]
	v_add_f64 v[3:4], v[7:8], -v[191:192]
	v_lshlrev_b32_sdwa v0, v121, v0 dst_sel:DWORD dst_unused:UNUSED_PAD src0_sel:DWORD src1_sel:WORD_0
	buffer_store_dword v0, off, s[36:39], 0 offset:1244 ; 4-byte Folded Spill
	ds_write_b128 v0, v[77:80]
	ds_write_b128 v0, v[73:76] offset:960
	v_mad_u16 v0, 0x78, v152, v157
	v_lshrrev_b16 v152, 14, v132
	v_mul_u32_u24_e32 v132, 0x223, v113
	v_lshlrev_b32_sdwa v0, v121, v0 dst_sel:DWORD dst_unused:UNUSED_PAD src0_sel:DWORD src1_sel:WORD_0
	v_lshrrev_b32_e32 v156, 16, v132
	v_lshrrev_b32_e32 v132, 17, v132
	buffer_store_dword v0, off, s[36:39], 0 offset:1240 ; 4-byte Folded Spill
	ds_write_b128 v0, v[69:72]
	ds_write_b128 v0, v[65:68] offset:960
	v_mad_u16 v0, 0x78, v150, v155
	v_fma_f64 v[5:6], v[5:6], 2.0, -v[1:2]
	v_fma_f64 v[7:8], v[7:8], 2.0, -v[3:4]
	v_lshrrev_b32_e32 v150, 17, v130
	v_lshrrev_b32_e32 v130, 18, v130
	v_lshlrev_b32_sdwa v0, v121, v0 dst_sel:DWORD dst_unused:UNUSED_PAD src0_sel:DWORD src1_sel:WORD_0
	buffer_store_dword v0, off, s[36:39], 0 offset:1236 ; 4-byte Folded Spill
	ds_write_b128 v0, v[61:64]
	ds_write_b128 v0, v[57:60] offset:960
	v_mad_u16 v0, 0x78, v148, v153
	v_lshrrev_b32_e32 v153, 17, v131
	v_lshrrev_b32_e32 v148, 17, v120
	v_lshlrev_b32_sdwa v0, v121, v0 dst_sel:DWORD dst_unused:UNUSED_PAD src0_sel:DWORD src1_sel:WORD_0
	buffer_store_dword v0, off, s[36:39], 0 offset:1232 ; 4-byte Folded Spill
	ds_write_b128 v0, v[53:56]
	ds_write_b128 v0, v[49:52] offset:960
	v_mad_u16 v0, 0x78, v146, v151
	v_lshrrev_b32_e32 v146, 17, v129
	v_lshlrev_b32_sdwa v0, v121, v0 dst_sel:DWORD dst_unused:UNUSED_PAD src0_sel:DWORD src1_sel:WORD_0
	buffer_store_dword v0, off, s[36:39], 0 offset:1228 ; 4-byte Folded Spill
	ds_write_b128 v0, v[45:48]
	ds_write_b128 v0, v[41:44] offset:960
	v_mad_u16 v0, 0x78, v143, v149
	v_lshlrev_b32_sdwa v0, v121, v0 dst_sel:DWORD dst_unused:UNUSED_PAD src0_sel:DWORD src1_sel:WORD_0
	buffer_store_dword v0, off, s[36:39], 0 offset:1224 ; 4-byte Folded Spill
	ds_write_b128 v0, v[37:40]
	ds_write_b128 v0, v[33:36] offset:960
	v_mad_u16 v0, 0x78, v141, v147
	;; [unrolled: 5-line block ×3, first 2 shown]
	v_lshrrev_b32_e32 v144, 18, v128
	v_lshlrev_b32_sdwa v0, v121, v0 dst_sel:DWORD dst_unused:UNUSED_PAD src0_sel:DWORD src1_sel:WORD_0
	buffer_store_dword v0, off, s[36:39], 0 offset:1216 ; 4-byte Folded Spill
	ds_write_b128 v0, v[21:24]
	ds_write_b128 v0, v[17:20] offset:960
	v_mad_u16 v0, 0x78, v136, v142
	v_lshrrev_b32_e32 v142, 18, v127
	v_lshlrev_b32_sdwa v0, v121, v0 dst_sel:DWORD dst_unused:UNUSED_PAD src0_sel:DWORD src1_sel:WORD_0
	buffer_store_dword v0, off, s[36:39], 0 offset:1212 ; 4-byte Folded Spill
	ds_write_b128 v0, v[13:16]
	ds_write_b128 v0, v[9:12] offset:960
	v_mad_u16 v0, 0x78, v135, v139
	v_lshrrev_b32_e32 v139, 18, v126
	v_lshrrev_b32_e32 v135, 18, v124
	v_lshlrev_b32_sdwa v0, v121, v0 dst_sel:DWORD dst_unused:UNUSED_PAD src0_sel:DWORD src1_sel:WORD_0
	buffer_store_dword v0, off, s[36:39], 0 offset:1208 ; 4-byte Folded Spill
	ds_write_b128 v0, v[5:8]
	ds_write_b128 v0, v[1:4] offset:960
	v_mad_u16 v0, 0x78, v134, v137
	v_lshrrev_b32_e32 v137, 18, v125
	v_lshlrev_b32_sdwa v0, v121, v0 dst_sel:DWORD dst_unused:UNUSED_PAD src0_sel:DWORD src1_sel:WORD_0
	buffer_store_dword v0, off, s[36:39], 0 offset:1204 ; 4-byte Folded Spill
	ds_write_b128 v0, v[116:119]
	ds_write_b128 v0, v[167:170] offset:960
	v_add_co_u32 v0, s30, 0xffffff88, v253
	v_add_co_ci_u32_e64 v1, null, 0, -1, s30
	s_waitcnt lgkmcnt(0)
	s_waitcnt_vscnt null, 0x0
	v_cndmask_b32_e32 v0, v0, v253, vcc_lo
	s_barrier
	v_cndmask_b32_e64 v1, v1, 0, vcc_lo
	buffer_gl0_inv
	v_lshlrev_b64 v[1:2], 4, v[0:1]
	v_add_co_u32 v1, vcc_lo, s10, v1
	v_add_co_ci_u32_e32 v2, vcc_lo, s11, v2, vcc_lo
	v_cmp_lt_u32_e32 vcc_lo, 0x77, v253
	global_load_dwordx4 v[7:10], v[1:2], off offset:1760
	s_waitcnt vmcnt(0)
	buffer_store_dword v7, off, s[36:39], 0 offset:1264 ; 4-byte Folded Spill
	buffer_store_dword v8, off, s[36:39], 0 offset:1268 ; 4-byte Folded Spill
	;; [unrolled: 1-line block ×4, first 2 shown]
	ds_read_b128 v[1:4], v247 offset:30720
	s_waitcnt lgkmcnt(0)
	v_mul_f64 v[5:6], v[3:4], v[9:10]
	v_fma_f64 v[5:6], v[1:2], v[7:8], -v[5:6]
	v_mul_f64 v[1:2], v[1:2], v[9:10]
	v_fma_f64 v[7:8], v[3:4], v[7:8], v[1:2]
	v_mul_lo_u16 v1, 0x78, v152
	v_sub_nc_u16 v1, v115, v1
	v_and_b32_e32 v155, 0xff, v1
	v_lshlrev_b32_e32 v1, 4, v155
	global_load_dwordx4 v[11:14], v1, s[10:11] offset:1760
	s_waitcnt vmcnt(0)
	buffer_store_dword v11, off, s[36:39], 0 offset:1280 ; 4-byte Folded Spill
	buffer_store_dword v12, off, s[36:39], 0 offset:1284 ; 4-byte Folded Spill
	;; [unrolled: 1-line block ×4, first 2 shown]
	ds_read_b128 v[1:4], v247 offset:32768
	s_waitcnt lgkmcnt(0)
	v_mul_f64 v[9:10], v[3:4], v[13:14]
	v_fma_f64 v[9:10], v[1:2], v[11:12], -v[9:10]
	v_mul_f64 v[1:2], v[1:2], v[13:14]
	v_fma_f64 v[11:12], v[3:4], v[11:12], v[1:2]
	v_mul_u32_u24_e32 v1, 0x223, v114
	v_lshrrev_b32_e32 v158, 16, v1
	v_mul_lo_u16 v1, 0x78, v158
	v_sub_nc_u16 v160, v114, v1
	v_lshrrev_b32_e32 v114, 18, v122
	v_lshlrev_b32_sdwa v1, v121, v160 dst_sel:DWORD dst_unused:UNUSED_PAD src0_sel:DWORD src1_sel:WORD_0
	global_load_dwordx4 v[15:18], v1, s[10:11] offset:1760
	s_waitcnt vmcnt(0)
	buffer_store_dword v15, off, s[36:39], 0 offset:1296 ; 4-byte Folded Spill
	buffer_store_dword v16, off, s[36:39], 0 offset:1300 ; 4-byte Folded Spill
	buffer_store_dword v17, off, s[36:39], 0 offset:1304 ; 4-byte Folded Spill
	buffer_store_dword v18, off, s[36:39], 0 offset:1308 ; 4-byte Folded Spill
	ds_read_b128 v[1:4], v247 offset:34816
	s_waitcnt lgkmcnt(0)
	v_mul_f64 v[13:14], v[3:4], v[17:18]
	v_fma_f64 v[13:14], v[1:2], v[15:16], -v[13:14]
	v_mul_f64 v[1:2], v[1:2], v[17:18]
	v_fma_f64 v[15:16], v[3:4], v[15:16], v[1:2]
	v_mul_lo_u16 v1, 0x78, v156
	v_sub_nc_u16 v159, v113, v1
	v_lshlrev_b32_sdwa v1, v121, v159 dst_sel:DWORD dst_unused:UNUSED_PAD src0_sel:DWORD src1_sel:WORD_0
	global_load_dwordx4 v[19:22], v1, s[10:11] offset:1760
	s_waitcnt vmcnt(0)
	buffer_store_dword v19, off, s[36:39], 0 offset:1312 ; 4-byte Folded Spill
	buffer_store_dword v20, off, s[36:39], 0 offset:1316 ; 4-byte Folded Spill
	buffer_store_dword v21, off, s[36:39], 0 offset:1320 ; 4-byte Folded Spill
	buffer_store_dword v22, off, s[36:39], 0 offset:1324 ; 4-byte Folded Spill
	ds_read_b128 v[1:4], v247 offset:36864
	s_waitcnt lgkmcnt(0)
	v_mul_f64 v[17:18], v[3:4], v[21:22]
	v_fma_f64 v[17:18], v[1:2], v[19:20], -v[17:18]
	v_mul_f64 v[1:2], v[1:2], v[21:22]
	v_fma_f64 v[19:20], v[3:4], v[19:20], v[1:2]
	v_mul_lo_u16 v1, 0x78, v153
	v_sub_nc_u16 v157, v181, v1
	;; [unrolled: 15-line block ×12, first 2 shown]
	v_lshlrev_b32_sdwa v1, v121, v134 dst_sel:DWORD dst_unused:UNUSED_PAD src0_sel:DWORD src1_sel:WORD_0
	global_load_dwordx4 v[43:46], v1, s[10:11] offset:1760
	s_waitcnt vmcnt(0)
	buffer_store_dword v43, off, s[36:39], 0 offset:1488 ; 4-byte Folded Spill
	buffer_store_dword v44, off, s[36:39], 0 offset:1492 ; 4-byte Folded Spill
	;; [unrolled: 1-line block ×4, first 2 shown]
	ds_read_b128 v[1:4], v247 offset:59392
	s_waitcnt lgkmcnt(0)
	v_mul_f64 v[41:42], v[3:4], v[45:46]
	v_fma_f64 v[118:119], v[1:2], v[43:44], -v[41:42]
	v_mul_f64 v[1:2], v[1:2], v[45:46]
	v_fma_f64 v[116:117], v[3:4], v[43:44], v[1:2]
	ds_read_b128 v[1:4], v247
	s_waitcnt lgkmcnt(0)
	v_add_f64 v[105:106], v[1:2], -v[5:6]
	v_add_f64 v[107:108], v[3:4], -v[7:8]
	ds_read_b128 v[5:8], v247 offset:26624
	v_fma_f64 v[109:110], v[1:2], 2.0, -v[105:106]
	v_fma_f64 v[111:112], v[3:4], 2.0, -v[107:108]
	ds_read_b128 v[1:4], v247 offset:2048
	s_waitcnt lgkmcnt(0)
	v_add_f64 v[97:98], v[1:2], -v[9:10]
	v_add_f64 v[99:100], v[3:4], -v[11:12]
	v_fma_f64 v[101:102], v[1:2], 2.0, -v[97:98]
	v_fma_f64 v[103:104], v[3:4], 2.0, -v[99:100]
	ds_read_b128 v[1:4], v247 offset:4096
	s_waitcnt lgkmcnt(0)
	v_add_f64 v[89:90], v[1:2], -v[13:14]
	v_add_f64 v[91:92], v[3:4], -v[15:16]
	;; [unrolled: 6-line block ×9, first 2 shown]
	ds_read_b128 v[161:164], v247 offset:28672
	v_fma_f64 v[37:38], v[1:2], 2.0, -v[33:34]
	v_fma_f64 v[39:40], v[3:4], 2.0, -v[35:36]
	ds_read_b128 v[1:4], v247 offset:20480
	s_waitcnt lgkmcnt(0)
	v_add_f64 v[25:26], v[1:2], -v[165:166]
	v_add_f64 v[27:28], v[3:4], -v[167:168]
	;; [unrolled: 1-line block ×4, first 2 shown]
	v_fma_f64 v[29:30], v[1:2], 2.0, -v[25:26]
	v_fma_f64 v[31:32], v[3:4], 2.0, -v[27:28]
	ds_read_b128 v[1:4], v247 offset:22528
	v_fma_f64 v[116:117], v[161:162], 2.0, -v[165:166]
	v_cndmask_b32_e64 v161, 0, 0xf0, vcc_lo
	v_fma_f64 v[118:119], v[163:164], 2.0, -v[167:168]
	v_add_lshl_u32 v0, v0, v161, 4
	buffer_store_dword v0, off, s[36:39], 0 offset:1552 ; 4-byte Folded Spill
	s_waitcnt lgkmcnt(0)
	v_add_f64 v[17:18], v[1:2], -v[169:170]
	v_add_f64 v[19:20], v[3:4], -v[171:172]
	v_fma_f64 v[21:22], v[1:2], 2.0, -v[17:18]
	v_fma_f64 v[23:24], v[3:4], 2.0, -v[19:20]
	ds_read_b128 v[1:4], v247 offset:24576
	s_waitcnt lgkmcnt(0)
	s_waitcnt_vscnt null, 0x0
	s_barrier
	buffer_gl0_inv
	ds_write_b128 v0, v[105:108] offset:1920
	ds_write_b128 v0, v[109:112]
	v_mov_b32_e32 v0, 0xf0
	v_mul_u32_u24_sdwa v0, v152, v0 dst_sel:DWORD dst_unused:UNUSED_PAD src0_sel:WORD_0 src1_sel:DWORD
	v_add_lshl_u32 v0, v0, v155, 4
	buffer_store_dword v0, off, s[36:39], 0 offset:1560 ; 4-byte Folded Spill
	ds_write_b128 v0, v[101:104]
	ds_write_b128 v0, v[97:100] offset:1920
	v_mad_u16 v0, 0xf0, v158, v160
	v_add_f64 v[9:10], v[1:2], -v[183:184]
	v_add_f64 v[11:12], v[3:4], -v[185:186]
	v_lshlrev_b32_sdwa v0, v121, v0 dst_sel:DWORD dst_unused:UNUSED_PAD src0_sel:DWORD src1_sel:WORD_0
	buffer_store_dword v0, off, s[36:39], 0 offset:1556 ; 4-byte Folded Spill
	ds_write_b128 v0, v[93:96]
	ds_write_b128 v0, v[89:92] offset:1920
	v_mad_u16 v0, 0xf0, v156, v159
	v_lshlrev_b32_sdwa v0, v121, v0 dst_sel:DWORD dst_unused:UNUSED_PAD src0_sel:DWORD src1_sel:WORD_0
	buffer_store_dword v0, off, s[36:39], 0 offset:1548 ; 4-byte Folded Spill
	ds_write_b128 v0, v[85:88]
	ds_write_b128 v0, v[81:84] offset:1920
	v_mad_u16 v0, 0xf0, v153, v157
	v_fma_f64 v[13:14], v[1:2], 2.0, -v[9:10]
	v_fma_f64 v[15:16], v[3:4], 2.0, -v[11:12]
	v_add_f64 v[1:2], v[5:6], -v[187:188]
	v_add_f64 v[3:4], v[7:8], -v[189:190]
	v_lshlrev_b32_sdwa v0, v121, v0 dst_sel:DWORD dst_unused:UNUSED_PAD src0_sel:DWORD src1_sel:WORD_0
	buffer_store_dword v0, off, s[36:39], 0 offset:1544 ; 4-byte Folded Spill
	ds_write_b128 v0, v[77:80]
	ds_write_b128 v0, v[73:76] offset:1920
	v_mad_u16 v0, 0xf0, v150, v154
	v_lshlrev_b32_sdwa v0, v121, v0 dst_sel:DWORD dst_unused:UNUSED_PAD src0_sel:DWORD src1_sel:WORD_0
	buffer_store_dword v0, off, s[36:39], 0 offset:1540 ; 4-byte Folded Spill
	ds_write_b128 v0, v[69:72]
	ds_write_b128 v0, v[65:68] offset:1920
	v_mad_u16 v0, 0xf0, v148, v151
	v_fma_f64 v[5:6], v[5:6], 2.0, -v[1:2]
	v_fma_f64 v[7:8], v[7:8], 2.0, -v[3:4]
	v_lshlrev_b32_sdwa v0, v121, v0 dst_sel:DWORD dst_unused:UNUSED_PAD src0_sel:DWORD src1_sel:WORD_0
	buffer_store_dword v0, off, s[36:39], 0 offset:1536 ; 4-byte Folded Spill
	ds_write_b128 v0, v[61:64]
	ds_write_b128 v0, v[57:60] offset:1920
	v_mad_u16 v0, 0xf0, v146, v149
	v_lshlrev_b32_sdwa v0, v121, v0 dst_sel:DWORD dst_unused:UNUSED_PAD src0_sel:DWORD src1_sel:WORD_0
	buffer_store_dword v0, off, s[36:39], 0 offset:1532 ; 4-byte Folded Spill
	ds_write_b128 v0, v[53:56]
	ds_write_b128 v0, v[49:52] offset:1920
	v_mad_u16 v0, 0xf0, v144, v147
	v_add_co_u32 v147, s30, s10, v247
	v_add_co_ci_u32_e64 v148, null, s11, 0, s30
	v_lshlrev_b32_sdwa v0, v121, v0 dst_sel:DWORD dst_unused:UNUSED_PAD src0_sel:DWORD src1_sel:WORD_0
	buffer_store_dword v0, off, s[36:39], 0 offset:1528 ; 4-byte Folded Spill
	ds_write_b128 v0, v[45:48]
	ds_write_b128 v0, v[41:44] offset:1920
	v_mad_u16 v0, 0xf0, v142, v145
	v_lshlrev_b32_sdwa v0, v121, v0 dst_sel:DWORD dst_unused:UNUSED_PAD src0_sel:DWORD src1_sel:WORD_0
	buffer_store_dword v0, off, s[36:39], 0 offset:1524 ; 4-byte Folded Spill
	ds_write_b128 v0, v[37:40]
	ds_write_b128 v0, v[33:36] offset:1920
	v_mad_u16 v0, 0xf0, v139, v143
	;; [unrolled: 5-line block ×3, first 2 shown]
	v_lshrrev_b32_e32 v141, 19, v123
	v_lshlrev_b32_sdwa v0, v121, v0 dst_sel:DWORD dst_unused:UNUSED_PAD src0_sel:DWORD src1_sel:WORD_0
	buffer_store_dword v0, off, s[36:39], 0 offset:1516 ; 4-byte Folded Spill
	ds_write_b128 v0, v[21:24]
	ds_write_b128 v0, v[17:20] offset:1920
	v_mad_u16 v0, 0xf0, v135, v138
	v_lshrrev_b32_e32 v138, 19, v125
	v_lshrrev_b32_e32 v125, 20, v125
	v_lshlrev_b32_sdwa v0, v121, v0 dst_sel:DWORD dst_unused:UNUSED_PAD src0_sel:DWORD src1_sel:WORD_0
	buffer_store_dword v0, off, s[36:39], 0 offset:1512 ; 4-byte Folded Spill
	ds_write_b128 v0, v[13:16]
	ds_write_b128 v0, v[9:12] offset:1920
	v_mad_u16 v0, 0xf0, v133, v136
	v_lshrrev_b32_e32 v136, 19, v127
	v_lshlrev_b32_sdwa v0, v121, v0 dst_sel:DWORD dst_unused:UNUSED_PAD src0_sel:DWORD src1_sel:WORD_0
	buffer_store_dword v0, off, s[36:39], 0 offset:1508 ; 4-byte Folded Spill
	ds_write_b128 v0, v[5:8]
	ds_write_b128 v0, v[1:4] offset:1920
	v_mad_u16 v0, 0xf0, v114, v134
	v_add_co_u32 v5, vcc_lo, 0x800, v147
	v_add_co_ci_u32_e32 v6, vcc_lo, 0, v148, vcc_lo
	v_lshlrev_b32_sdwa v0, v121, v0 dst_sel:DWORD dst_unused:UNUSED_PAD src0_sel:DWORD src1_sel:WORD_0
	v_mov_b32_e32 v114, 0
	v_lshrrev_b32_e32 v134, 18, v129
	buffer_store_dword v0, off, s[36:39], 0 offset:1504 ; 4-byte Folded Spill
	ds_write_b128 v0, v[116:119]
	ds_write_b128 v0, v[165:168] offset:1920
	s_waitcnt lgkmcnt(0)
	s_waitcnt_vscnt null, 0x0
	s_barrier
	buffer_gl0_inv
	global_load_dwordx4 v[9:12], v[5:6], off offset:1632
	s_waitcnt vmcnt(0)
	buffer_store_dword v9, off, s[36:39], 0 offset:1564 ; 4-byte Folded Spill
	buffer_store_dword v10, off, s[36:39], 0 offset:1568 ; 4-byte Folded Spill
	;; [unrolled: 1-line block ×4, first 2 shown]
	ds_read_b128 v[0:3], v247 offset:30720
	v_mov_b32_e32 v116, v114
	v_cmp_gt_u64_e32 vcc_lo, 0xf0, v[115:116]
	s_waitcnt lgkmcnt(0)
	v_mul_f64 v[7:8], v[2:3], v[11:12]
	v_fma_f64 v[7:8], v[0:1], v[9:10], -v[7:8]
	v_mul_f64 v[0:1], v[0:1], v[11:12]
	v_fma_f64 v[9:10], v[2:3], v[9:10], v[0:1]
	v_add_co_u32 v0, s30, 0xffffff90, v253
	v_add_co_ci_u32_e64 v1, null, 0, -1, s30
	v_cndmask_b32_e32 v0, v0, v115, vcc_lo
	v_cndmask_b32_e64 v1, v1, 0, vcc_lo
	v_lshlrev_b64 v[1:2], 4, v[0:1]
	v_add_co_u32 v1, vcc_lo, s10, v1
	v_add_co_ci_u32_e32 v2, vcc_lo, s11, v2, vcc_lo
	v_add_co_u32 v1, vcc_lo, 0x800, v1
	v_add_co_ci_u32_e32 v2, vcc_lo, 0, v2, vcc_lo
	global_load_dwordx4 v[13:16], v[1:2], off offset:1632
	s_waitcnt vmcnt(0)
	buffer_store_dword v13, off, s[36:39], 0 offset:1580 ; 4-byte Folded Spill
	buffer_store_dword v14, off, s[36:39], 0 offset:1584 ; 4-byte Folded Spill
	;; [unrolled: 1-line block ×4, first 2 shown]
	ds_read_b128 v[1:4], v247 offset:32768
	s_waitcnt lgkmcnt(0)
	v_mul_f64 v[11:12], v[3:4], v[15:16]
	v_fma_f64 v[11:12], v[1:2], v[13:14], -v[11:12]
	v_mul_f64 v[1:2], v[1:2], v[15:16]
	global_load_dwordx4 v[15:18], v[5:6], off offset:1888
	s_waitcnt vmcnt(0)
	buffer_store_dword v15, off, s[36:39], 0 offset:1596 ; 4-byte Folded Spill
	buffer_store_dword v16, off, s[36:39], 0 offset:1600 ; 4-byte Folded Spill
	;; [unrolled: 1-line block ×4, first 2 shown]
	v_fma_f64 v[13:14], v[3:4], v[13:14], v[1:2]
	ds_read_b128 v[1:4], v247 offset:34816
	s_waitcnt lgkmcnt(0)
	v_mul_f64 v[5:6], v[3:4], v[17:18]
	v_fma_f64 v[5:6], v[1:2], v[15:16], -v[5:6]
	v_mul_f64 v[1:2], v[1:2], v[17:18]
	v_fma_f64 v[15:16], v[3:4], v[15:16], v[1:2]
	v_mul_lo_u16 v1, 0xf0, v132
	v_sub_nc_u16 v133, v113, v1
	v_lshlrev_b32_sdwa v1, v121, v133 dst_sel:DWORD dst_unused:UNUSED_PAD src0_sel:DWORD src1_sel:WORD_0
	v_add_co_u32 v1, s30, s10, v1
	v_add_co_ci_u32_e64 v2, null, s11, 0, s30
	v_add_co_u32 v1, vcc_lo, 0x800, v1
	v_add_co_ci_u32_e32 v2, vcc_lo, 0, v2, vcc_lo
	global_load_dwordx4 v[19:22], v[1:2], off offset:1632
	s_waitcnt vmcnt(0)
	buffer_store_dword v19, off, s[36:39], 0 offset:1612 ; 4-byte Folded Spill
	buffer_store_dword v20, off, s[36:39], 0 offset:1616 ; 4-byte Folded Spill
	buffer_store_dword v21, off, s[36:39], 0 offset:1620 ; 4-byte Folded Spill
	buffer_store_dword v22, off, s[36:39], 0 offset:1624 ; 4-byte Folded Spill
	ds_read_b128 v[1:4], v247 offset:36864
	s_waitcnt lgkmcnt(0)
	v_mul_f64 v[17:18], v[3:4], v[21:22]
	v_fma_f64 v[17:18], v[1:2], v[19:20], -v[17:18]
	v_mul_f64 v[1:2], v[1:2], v[21:22]
	v_fma_f64 v[19:20], v[3:4], v[19:20], v[1:2]
	v_lshrrev_b32_e32 v1, 18, v131
	v_mul_lo_u16 v1, 0xf0, v1
	v_sub_nc_u16 v1, v181, v1
	v_lshlrev_b32_sdwa v165, v121, v1 dst_sel:DWORD dst_unused:UNUSED_PAD src0_sel:DWORD src1_sel:WORD_0
	v_add_co_u32 v1, s30, s10, v165
	v_add_co_ci_u32_e64 v2, null, s11, 0, s30
	v_add_co_u32 v1, vcc_lo, 0x800, v1
	v_add_co_ci_u32_e32 v2, vcc_lo, 0, v2, vcc_lo
	global_load_dwordx4 v[23:26], v[1:2], off offset:1632
	s_waitcnt vmcnt(0)
	buffer_store_dword v23, off, s[36:39], 0 offset:1628 ; 4-byte Folded Spill
	buffer_store_dword v24, off, s[36:39], 0 offset:1632 ; 4-byte Folded Spill
	buffer_store_dword v25, off, s[36:39], 0 offset:1636 ; 4-byte Folded Spill
	buffer_store_dword v26, off, s[36:39], 0 offset:1640 ; 4-byte Folded Spill
	ds_read_b128 v[1:4], v247 offset:38912
	s_waitcnt lgkmcnt(0)
	v_mul_f64 v[21:22], v[3:4], v[25:26]
	v_fma_f64 v[21:22], v[1:2], v[23:24], -v[21:22]
	v_mul_f64 v[1:2], v[1:2], v[25:26]
	v_fma_f64 v[23:24], v[3:4], v[23:24], v[1:2]
	v_mul_lo_u16 v1, 0xf0, v130
	v_sub_nc_u16 v131, v182, v1
	v_lshlrev_b32_sdwa v1, v121, v131 dst_sel:DWORD dst_unused:UNUSED_PAD src0_sel:DWORD src1_sel:WORD_0
	v_add_co_u32 v1, s30, s10, v1
	v_add_co_ci_u32_e64 v2, null, s11, 0, s30
	v_add_co_u32 v1, vcc_lo, 0x800, v1
	v_add_co_ci_u32_e32 v2, vcc_lo, 0, v2, vcc_lo
	global_load_dwordx4 v[27:30], v[1:2], off offset:1632
	s_waitcnt vmcnt(0)
	buffer_store_dword v27, off, s[36:39], 0 offset:1644 ; 4-byte Folded Spill
	buffer_store_dword v28, off, s[36:39], 0 offset:1648 ; 4-byte Folded Spill
	buffer_store_dword v29, off, s[36:39], 0 offset:1652 ; 4-byte Folded Spill
	buffer_store_dword v30, off, s[36:39], 0 offset:1656 ; 4-byte Folded Spill
	ds_read_b128 v[1:4], v247 offset:40960
	s_waitcnt lgkmcnt(0)
	v_mul_f64 v[25:26], v[3:4], v[29:30]
	v_fma_f64 v[25:26], v[1:2], v[27:28], -v[25:26]
	v_mul_f64 v[1:2], v[1:2], v[29:30]
	v_fma_f64 v[27:28], v[3:4], v[27:28], v[1:2]
	v_lshrrev_b32_e32 v1, 18, v120
	v_mul_lo_u16 v1, 0xf0, v1
	v_sub_nc_u16 v1, v180, v1
	v_lshlrev_b32_sdwa v166, v121, v1 dst_sel:DWORD dst_unused:UNUSED_PAD src0_sel:DWORD src1_sel:WORD_0
	v_add_co_u32 v1, s30, s10, v166
	v_add_co_ci_u32_e64 v2, null, s11, 0, s30
	v_add_co_u32 v1, vcc_lo, 0x800, v1
	v_add_co_ci_u32_e32 v2, vcc_lo, 0, v2, vcc_lo
	global_load_dwordx4 v[31:34], v[1:2], off offset:1632
	s_waitcnt vmcnt(0)
	buffer_store_dword v31, off, s[36:39], 0 offset:1660 ; 4-byte Folded Spill
	buffer_store_dword v32, off, s[36:39], 0 offset:1664 ; 4-byte Folded Spill
	buffer_store_dword v33, off, s[36:39], 0 offset:1668 ; 4-byte Folded Spill
	buffer_store_dword v34, off, s[36:39], 0 offset:1672 ; 4-byte Folded Spill
	;; [unrolled: 39-line block ×5, first 2 shown]
	ds_read_b128 v[1:4], v247 offset:55296
	s_waitcnt lgkmcnt(0)
	v_mul_f64 v[41:42], v[3:4], v[45:46]
	v_fma_f64 v[157:158], v[1:2], v[43:44], -v[41:42]
	v_mul_f64 v[1:2], v[1:2], v[45:46]
	v_fma_f64 v[159:160], v[3:4], v[43:44], v[1:2]
	v_mul_lo_u16 v1, 0xf0, v141
	v_sub_nc_u16 v142, v175, v1
	v_lshlrev_b32_sdwa v1, v121, v142 dst_sel:DWORD dst_unused:UNUSED_PAD src0_sel:DWORD src1_sel:WORD_0
	v_add_co_u32 v1, s30, s10, v1
	v_add_co_ci_u32_e64 v2, null, s11, 0, s30
	v_add_co_u32 v1, vcc_lo, 0x800, v1
	v_add_co_ci_u32_e32 v2, vcc_lo, 0, v2, vcc_lo
	global_load_dwordx4 v[43:46], v[1:2], off offset:1632
	s_waitcnt vmcnt(0)
	buffer_store_dword v43, off, s[36:39], 0 offset:1772 ; 4-byte Folded Spill
	buffer_store_dword v44, off, s[36:39], 0 offset:1776 ; 4-byte Folded Spill
	;; [unrolled: 1-line block ×4, first 2 shown]
	ds_read_b128 v[1:4], v247 offset:57344
	s_waitcnt lgkmcnt(0)
	v_mul_f64 v[41:42], v[3:4], v[45:46]
	v_fma_f64 v[161:162], v[1:2], v[43:44], -v[41:42]
	v_mul_f64 v[1:2], v[1:2], v[45:46]
	v_fma_f64 v[163:164], v[3:4], v[43:44], v[1:2]
	v_lshrrev_b32_e32 v1, 19, v122
	v_mul_lo_u16 v1, 0xf0, v1
	v_sub_nc_u16 v1, v179, v1
	v_lshlrev_b32_sdwa v170, v121, v1 dst_sel:DWORD dst_unused:UNUSED_PAD src0_sel:DWORD src1_sel:WORD_0
	v_add_co_u32 v1, s30, s10, v170
	v_add_co_ci_u32_e64 v2, null, s11, 0, s30
	v_add_co_u32 v1, vcc_lo, 0x800, v1
	v_add_co_ci_u32_e32 v2, vcc_lo, 0, v2, vcc_lo
	v_cmp_lt_u64_e32 vcc_lo, 0xef, v[115:116]
	global_load_dwordx4 v[43:46], v[1:2], off offset:1632
	s_waitcnt vmcnt(0)
	buffer_store_dword v43, off, s[36:39], 0 offset:1788 ; 4-byte Folded Spill
	buffer_store_dword v44, off, s[36:39], 0 offset:1792 ; 4-byte Folded Spill
	buffer_store_dword v45, off, s[36:39], 0 offset:1796 ; 4-byte Folded Spill
	buffer_store_dword v46, off, s[36:39], 0 offset:1800 ; 4-byte Folded Spill
	ds_read_b128 v[1:4], v247 offset:59392
	s_waitcnt lgkmcnt(0)
	v_mul_f64 v[41:42], v[3:4], v[45:46]
	v_fma_f64 v[119:120], v[1:2], v[43:44], -v[41:42]
	v_mul_f64 v[1:2], v[1:2], v[45:46]
	v_fma_f64 v[117:118], v[3:4], v[43:44], v[1:2]
	ds_read_b128 v[1:4], v247
	s_waitcnt lgkmcnt(0)
	v_add_f64 v[105:106], v[1:2], -v[7:8]
	v_add_f64 v[107:108], v[3:4], -v[9:10]
	v_fma_f64 v[109:110], v[1:2], 2.0, -v[105:106]
	v_fma_f64 v[111:112], v[3:4], 2.0, -v[107:108]
	ds_read_b128 v[1:4], v247 offset:2048
	s_waitcnt lgkmcnt(0)
	v_add_f64 v[93:94], v[1:2], -v[11:12]
	v_add_f64 v[95:96], v[3:4], -v[13:14]
	v_fma_f64 v[101:102], v[1:2], 2.0, -v[93:94]
	v_fma_f64 v[103:104], v[3:4], 2.0, -v[95:96]
	ds_read_b128 v[1:4], v247 offset:4096
	s_waitcnt lgkmcnt(0)
	v_add_f64 v[89:90], v[1:2], -v[5:6]
	v_add_f64 v[91:92], v[3:4], -v[15:16]
	ds_read_b128 v[5:8], v247 offset:26624
	v_fma_f64 v[97:98], v[1:2], 2.0, -v[89:90]
	v_fma_f64 v[99:100], v[3:4], 2.0, -v[91:92]
	ds_read_b128 v[1:4], v247 offset:6144
	s_waitcnt lgkmcnt(0)
	v_add_f64 v[77:78], v[1:2], -v[17:18]
	v_add_f64 v[79:80], v[3:4], -v[19:20]
	v_fma_f64 v[85:86], v[1:2], 2.0, -v[77:78]
	v_fma_f64 v[87:88], v[3:4], 2.0, -v[79:80]
	ds_read_b128 v[1:4], v247 offset:8192
	s_waitcnt lgkmcnt(0)
	v_add_f64 v[73:74], v[1:2], -v[21:22]
	v_add_f64 v[75:76], v[3:4], -v[23:24]
	;; [unrolled: 6-line block ×7, first 2 shown]
	ds_read_b128 v[143:146], v247 offset:28672
	v_fma_f64 v[37:38], v[1:2], 2.0, -v[29:30]
	v_fma_f64 v[39:40], v[3:4], 2.0, -v[31:32]
	ds_read_b128 v[1:4], v247 offset:20480
	s_waitcnt lgkmcnt(0)
	v_add_f64 v[25:26], v[1:2], -v[149:150]
	v_add_f64 v[27:28], v[3:4], -v[151:152]
	;; [unrolled: 1-line block ×4, first 2 shown]
	v_fma_f64 v[33:34], v[1:2], 2.0, -v[25:26]
	v_fma_f64 v[35:36], v[3:4], 2.0, -v[27:28]
	ds_read_b128 v[1:4], v247 offset:22528
	v_fma_f64 v[117:118], v[143:144], 2.0, -v[149:150]
	v_fma_f64 v[119:120], v[145:146], 2.0, -v[151:152]
	s_waitcnt lgkmcnt(0)
	v_add_f64 v[13:14], v[1:2], -v[153:154]
	v_add_f64 v[15:16], v[3:4], -v[155:156]
	v_fma_f64 v[21:22], v[1:2], 2.0, -v[13:14]
	v_fma_f64 v[23:24], v[3:4], 2.0, -v[15:16]
	ds_read_b128 v[1:4], v247 offset:24576
	s_waitcnt lgkmcnt(0)
	s_waitcnt_vscnt null, 0x0
	s_barrier
	buffer_gl0_inv
	ds_write_b128 v247, v[105:108] offset:3840
	ds_write_b128 v247, v[109:112]
	v_cndmask_b32_e64 v105, 0, 0x1e0, vcc_lo
	v_add_lshl_u32 v0, v105, v0, 4
	buffer_store_dword v0, off, s[36:39], 0 offset:1852 ; 4-byte Folded Spill
	ds_write_b128 v0, v[101:104]
	ds_write_b128 v0, v[93:96] offset:3840
	ds_write_b128 v247, v[97:100] offset:7936
	;; [unrolled: 1-line block ×3, first 2 shown]
	v_mad_u16 v0, 0x1e0, v132, v133
	v_add_f64 v[9:10], v[1:2], -v[157:158]
	v_add_f64 v[11:12], v[3:4], -v[159:160]
	v_lshlrev_b32_sdwa v0, v121, v0 dst_sel:DWORD dst_unused:UNUSED_PAD src0_sel:DWORD src1_sel:WORD_0
	buffer_store_dword v0, off, s[36:39], 0 offset:1848 ; 4-byte Folded Spill
	ds_write_b128 v0, v[85:88]
	ds_write_b128 v0, v[77:80] offset:3840
	v_mad_u16 v0, 0x1e0, v130, v131
	buffer_store_dword v165, off, s[36:39], 0 offset:1844 ; 4-byte Folded Spill
	ds_write_b128 v165, v[81:84] offset:15360
	ds_write_b128 v165, v[73:76] offset:19200
	v_lshlrev_b32_sdwa v0, v121, v0 dst_sel:DWORD dst_unused:UNUSED_PAD src0_sel:DWORD src1_sel:WORD_0
	buffer_store_dword v0, off, s[36:39], 0 offset:1840 ; 4-byte Folded Spill
	ds_write_b128 v0, v[69:72]
	ds_write_b128 v0, v[61:64] offset:3840
	v_mad_u16 v0, 0x1e0, v134, v135
	v_fma_f64 v[17:18], v[1:2], 2.0, -v[9:10]
	v_fma_f64 v[19:20], v[3:4], 2.0, -v[11:12]
	v_add_f64 v[1:2], v[5:6], -v[161:162]
	v_add_f64 v[3:4], v[7:8], -v[163:164]
	v_lshlrev_b32_sdwa v0, v121, v0 dst_sel:DWORD dst_unused:UNUSED_PAD src0_sel:DWORD src1_sel:WORD_0
	buffer_store_dword v166, off, s[36:39], 0 offset:1836 ; 4-byte Folded Spill
	ds_write_b128 v166, v[65:68] offset:23040
	ds_write_b128 v166, v[57:60] offset:26880
	buffer_store_dword v0, off, s[36:39], 0 offset:1832 ; 4-byte Folded Spill
	ds_write_b128 v0, v[53:56]
	ds_write_b128 v0, v[45:48] offset:3840
	v_mad_u16 v0, 0x1e0, v136, v137
	buffer_store_dword v167, off, s[36:39], 0 offset:1828 ; 4-byte Folded Spill
	ds_write_b128 v167, v[49:52] offset:30720
	ds_write_b128 v167, v[41:44] offset:34560
	v_lshlrev_b32_sdwa v0, v121, v0 dst_sel:DWORD dst_unused:UNUSED_PAD src0_sel:DWORD src1_sel:WORD_0
	buffer_store_dword v0, off, s[36:39], 0 offset:1824 ; 4-byte Folded Spill
	ds_write_b128 v0, v[37:40]
	ds_write_b128 v0, v[29:32] offset:3840
	v_mad_u16 v0, 0x1e0, v138, v139
	v_fma_f64 v[5:6], v[5:6], 2.0, -v[1:2]
	v_fma_f64 v[7:8], v[7:8], 2.0, -v[3:4]
	buffer_store_dword v168, off, s[36:39], 0 offset:1820 ; 4-byte Folded Spill
	ds_write_b128 v168, v[33:36] offset:38400
	ds_write_b128 v168, v[25:28] offset:42240
	v_lshlrev_b32_sdwa v0, v121, v0 dst_sel:DWORD dst_unused:UNUSED_PAD src0_sel:DWORD src1_sel:WORD_0
	buffer_store_dword v0, off, s[36:39], 0 offset:1816 ; 4-byte Folded Spill
	ds_write_b128 v0, v[21:24]
	ds_write_b128 v0, v[13:16] offset:3840
	v_mad_u16 v0, 0x1e0, v141, v142
	buffer_store_dword v169, off, s[36:39], 0 offset:1812 ; 4-byte Folded Spill
	ds_write_b128 v169, v[17:20] offset:46080
	ds_write_b128 v169, v[9:12] offset:49920
	v_lshlrev_b32_sdwa v0, v121, v0 dst_sel:DWORD dst_unused:UNUSED_PAD src0_sel:DWORD src1_sel:WORD_0
	buffer_store_dword v0, off, s[36:39], 0 offset:1808 ; 4-byte Folded Spill
	ds_write_b128 v0, v[5:8]
	ds_write_b128 v0, v[1:4] offset:3840
	v_add_co_u32 v5, vcc_lo, 0x1800, v147
	v_add_co_ci_u32_e32 v6, vcc_lo, 0, v148, vcc_lo
	buffer_store_dword v170, off, s[36:39], 0 offset:1804 ; 4-byte Folded Spill
	ds_write_b128 v170, v[117:120] offset:53760
	ds_write_b128 v170, v[149:152] offset:57600
	s_waitcnt lgkmcnt(0)
	s_waitcnt_vscnt null, 0x0
	s_barrier
	buffer_gl0_inv
	global_load_dwordx4 v[9:12], v[5:6], off offset:1376
	s_waitcnt vmcnt(0)
	buffer_store_dword v9, off, s[36:39], 0 offset:1856 ; 4-byte Folded Spill
	buffer_store_dword v10, off, s[36:39], 0 offset:1860 ; 4-byte Folded Spill
	;; [unrolled: 1-line block ×4, first 2 shown]
	ds_read_b128 v[0:3], v247 offset:30720
	v_lshrrev_b32_e32 v119, 19, v129
	s_waitcnt lgkmcnt(0)
	v_mul_f64 v[7:8], v[2:3], v[11:12]
	v_fma_f64 v[7:8], v[0:1], v[9:10], -v[7:8]
	v_mul_f64 v[0:1], v[0:1], v[11:12]
	v_add_co_u32 v11, vcc_lo, 0x2000, v147
	v_add_co_ci_u32_e32 v12, vcc_lo, 0, v148, vcc_lo
	global_load_dwordx4 v[15:18], v[11:12], off offset:1376
	s_waitcnt vmcnt(0)
	buffer_store_dword v15, off, s[36:39], 0 offset:1872 ; 4-byte Folded Spill
	buffer_store_dword v16, off, s[36:39], 0 offset:1876 ; 4-byte Folded Spill
	;; [unrolled: 1-line block ×4, first 2 shown]
	v_fma_f64 v[9:10], v[2:3], v[9:10], v[0:1]
	ds_read_b128 v[0:3], v247 offset:32768
	s_waitcnt lgkmcnt(0)
	v_mul_f64 v[13:14], v[2:3], v[17:18]
	v_fma_f64 v[13:14], v[0:1], v[15:16], -v[13:14]
	v_mul_f64 v[0:1], v[0:1], v[17:18]
	v_add_co_u32 v17, vcc_lo, 0x2800, v147
	v_add_co_ci_u32_e32 v18, vcc_lo, 0, v148, vcc_lo
	v_cmp_gt_u64_e32 vcc_lo, 0x1e0, v[113:114]
	global_load_dwordx4 v[21:24], v[17:18], off offset:1376
	s_waitcnt vmcnt(0)
	buffer_store_dword v21, off, s[36:39], 0 offset:1888 ; 4-byte Folded Spill
	buffer_store_dword v22, off, s[36:39], 0 offset:1892 ; 4-byte Folded Spill
	buffer_store_dword v23, off, s[36:39], 0 offset:1896 ; 4-byte Folded Spill
	buffer_store_dword v24, off, s[36:39], 0 offset:1900 ; 4-byte Folded Spill
	v_fma_f64 v[15:16], v[2:3], v[15:16], v[0:1]
	ds_read_b128 v[0:3], v247 offset:34816
	s_waitcnt lgkmcnt(0)
	v_mul_f64 v[19:20], v[2:3], v[23:24]
	v_fma_f64 v[19:20], v[0:1], v[21:22], -v[19:20]
	v_mul_f64 v[0:1], v[0:1], v[23:24]
	v_fma_f64 v[21:22], v[2:3], v[21:22], v[0:1]
	v_add_co_u32 v0, s30, 0xffffffa0, v253
	v_add_co_ci_u32_e64 v1, null, 0, -1, s30
	v_cndmask_b32_e32 v0, v0, v113, vcc_lo
	v_cndmask_b32_e64 v1, v1, 0, vcc_lo
	v_lshlrev_b64 v[1:2], 4, v[0:1]
	v_add_co_u32 v1, vcc_lo, s10, v1
	v_add_co_ci_u32_e32 v2, vcc_lo, s11, v2, vcc_lo
	v_add_co_u32 v1, vcc_lo, 0x1800, v1
	v_add_co_ci_u32_e32 v2, vcc_lo, 0, v2, vcc_lo
	global_load_dwordx4 v[25:28], v[1:2], off offset:1376
	s_waitcnt vmcnt(0)
	buffer_store_dword v25, off, s[36:39], 0 offset:1904 ; 4-byte Folded Spill
	buffer_store_dword v26, off, s[36:39], 0 offset:1908 ; 4-byte Folded Spill
	;; [unrolled: 1-line block ×4, first 2 shown]
	ds_read_b128 v[1:4], v247 offset:36864
	s_waitcnt lgkmcnt(0)
	v_mul_f64 v[23:24], v[3:4], v[27:28]
	v_fma_f64 v[23:24], v[1:2], v[25:26], -v[23:24]
	v_mul_f64 v[1:2], v[1:2], v[27:28]
	global_load_dwordx4 v[27:30], v[5:6], off offset:1888
	s_waitcnt vmcnt(0)
	buffer_store_dword v27, off, s[36:39], 0 offset:1920 ; 4-byte Folded Spill
	buffer_store_dword v28, off, s[36:39], 0 offset:1924 ; 4-byte Folded Spill
	buffer_store_dword v29, off, s[36:39], 0 offset:1928 ; 4-byte Folded Spill
	buffer_store_dword v30, off, s[36:39], 0 offset:1932 ; 4-byte Folded Spill
	v_fma_f64 v[25:26], v[3:4], v[25:26], v[1:2]
	ds_read_b128 v[1:4], v247 offset:38912
	s_waitcnt lgkmcnt(0)
	v_mul_f64 v[5:6], v[3:4], v[29:30]
	v_fma_f64 v[5:6], v[1:2], v[27:28], -v[5:6]
	v_mul_f64 v[1:2], v[1:2], v[29:30]
	global_load_dwordx4 v[29:32], v[11:12], off offset:1888
	s_waitcnt vmcnt(0)
	buffer_store_dword v29, off, s[36:39], 0 offset:1936 ; 4-byte Folded Spill
	buffer_store_dword v30, off, s[36:39], 0 offset:1940 ; 4-byte Folded Spill
	buffer_store_dword v31, off, s[36:39], 0 offset:1944 ; 4-byte Folded Spill
	buffer_store_dword v32, off, s[36:39], 0 offset:1948 ; 4-byte Folded Spill
	v_fma_f64 v[27:28], v[3:4], v[27:28], v[1:2]
	;; [unrolled: 12-line block ×3, first 2 shown]
	ds_read_b128 v[1:4], v247 offset:43008
	s_waitcnt lgkmcnt(0)
	v_mul_f64 v[17:18], v[3:4], v[33:34]
	v_fma_f64 v[17:18], v[1:2], v[31:32], -v[17:18]
	v_mul_f64 v[1:2], v[1:2], v[33:34]
	v_fma_f64 v[31:32], v[3:4], v[31:32], v[1:2]
	v_mul_lo_u16 v1, 0x1e0, v119
	v_sub_nc_u16 v120, v140, v1
	v_lshlrev_b32_sdwa v1, v121, v120 dst_sel:DWORD dst_unused:UNUSED_PAD src0_sel:DWORD src1_sel:WORD_0
	v_add_co_u32 v1, s30, s10, v1
	v_add_co_ci_u32_e64 v2, null, s11, 0, s30
	v_add_co_u32 v1, vcc_lo, 0x1800, v1
	v_add_co_ci_u32_e32 v2, vcc_lo, 0, v2, vcc_lo
	global_load_dwordx4 v[35:38], v[1:2], off offset:1376
	s_waitcnt vmcnt(0)
	buffer_store_dword v35, off, s[36:39], 0 offset:1968 ; 4-byte Folded Spill
	buffer_store_dword v36, off, s[36:39], 0 offset:1972 ; 4-byte Folded Spill
	buffer_store_dword v37, off, s[36:39], 0 offset:1976 ; 4-byte Folded Spill
	buffer_store_dword v38, off, s[36:39], 0 offset:1980 ; 4-byte Folded Spill
	ds_read_b128 v[1:4], v247 offset:45056
	s_waitcnt lgkmcnt(0)
	v_mul_f64 v[33:34], v[3:4], v[37:38]
	v_fma_f64 v[33:34], v[1:2], v[35:36], -v[33:34]
	v_mul_f64 v[1:2], v[1:2], v[37:38]
	v_fma_f64 v[35:36], v[3:4], v[35:36], v[1:2]
	v_lshrrev_b32_e32 v1, 20, v128
	v_mul_lo_u16 v1, 0x1e0, v1
	v_sub_nc_u16 v1, v178, v1
	v_lshlrev_b32_sdwa v139, v121, v1 dst_sel:DWORD dst_unused:UNUSED_PAD src0_sel:DWORD src1_sel:WORD_0
	v_add_co_u32 v1, s30, s10, v139
	v_add_co_ci_u32_e64 v2, null, s11, 0, s30
	v_add_co_u32 v1, vcc_lo, 0x1800, v1
	v_add_co_ci_u32_e32 v2, vcc_lo, 0, v2, vcc_lo
	global_load_dwordx4 v[39:42], v[1:2], off offset:1376
	s_waitcnt vmcnt(0)
	buffer_store_dword v39, off, s[36:39], 0 offset:1984 ; 4-byte Folded Spill
	buffer_store_dword v40, off, s[36:39], 0 offset:1988 ; 4-byte Folded Spill
	buffer_store_dword v41, off, s[36:39], 0 offset:1992 ; 4-byte Folded Spill
	buffer_store_dword v42, off, s[36:39], 0 offset:1996 ; 4-byte Folded Spill
	ds_read_b128 v[1:4], v247 offset:47104
	s_waitcnt lgkmcnt(0)
	v_mul_f64 v[37:38], v[3:4], v[41:42]
	v_fma_f64 v[37:38], v[1:2], v[39:40], -v[37:38]
	v_mul_f64 v[1:2], v[1:2], v[41:42]
	v_fma_f64 v[39:40], v[3:4], v[39:40], v[1:2]
	v_lshrrev_b32_e32 v1, 20, v127
	;; [unrolled: 20-line block ×3, first 2 shown]
	v_mul_lo_u16 v1, 0x1e0, v1
	v_sub_nc_u16 v1, v176, v1
	v_lshlrev_b32_sdwa v144, v121, v1 dst_sel:DWORD dst_unused:UNUSED_PAD src0_sel:DWORD src1_sel:WORD_0
	v_add_co_u32 v1, s30, s10, v144
	v_add_co_ci_u32_e64 v2, null, s11, 0, s30
	v_add_co_u32 v1, vcc_lo, 0x1800, v1
	v_add_co_ci_u32_e32 v2, vcc_lo, 0, v2, vcc_lo
	global_load_dwordx4 v[47:50], v[1:2], off offset:1376
	s_waitcnt vmcnt(0)
	buffer_store_dword v47, off, s[36:39], 0 offset:2016 ; 4-byte Folded Spill
	buffer_store_dword v48, off, s[36:39], 0 offset:2020 ; 4-byte Folded Spill
	;; [unrolled: 1-line block ×4, first 2 shown]
	ds_read_b128 v[1:4], v247 offset:51200
	s_waitcnt lgkmcnt(0)
	v_mul_f64 v[45:46], v[3:4], v[49:50]
	v_fma_f64 v[127:128], v[1:2], v[47:48], -v[45:46]
	v_mul_f64 v[1:2], v[1:2], v[49:50]
	v_fma_f64 v[129:130], v[3:4], v[47:48], v[1:2]
	v_mul_lo_u16 v1, 0x1e0, v125
	v_sub_nc_u16 v126, v177, v1
	v_lshlrev_b32_sdwa v1, v121, v126 dst_sel:DWORD dst_unused:UNUSED_PAD src0_sel:DWORD src1_sel:WORD_0
	v_add_co_u32 v1, s30, s10, v1
	v_add_co_ci_u32_e64 v2, null, s11, 0, s30
	v_add_co_u32 v1, vcc_lo, 0x1800, v1
	v_add_co_ci_u32_e32 v2, vcc_lo, 0, v2, vcc_lo
	global_load_dwordx4 v[47:50], v[1:2], off offset:1376
	s_waitcnt vmcnt(0)
	buffer_store_dword v47, off, s[36:39], 0 offset:2032 ; 4-byte Folded Spill
	buffer_store_dword v48, off, s[36:39], 0 offset:2036 ; 4-byte Folded Spill
	buffer_store_dword v49, off, s[36:39], 0 offset:2040 ; 4-byte Folded Spill
	buffer_store_dword v50, off, s[36:39], 0 offset:2044 ; 4-byte Folded Spill
	ds_read_b128 v[1:4], v247 offset:53248
	s_waitcnt lgkmcnt(0)
	v_mul_f64 v[45:46], v[3:4], v[49:50]
	v_fma_f64 v[131:132], v[1:2], v[47:48], -v[45:46]
	v_mul_f64 v[1:2], v[1:2], v[49:50]
	v_fma_f64 v[133:134], v[3:4], v[47:48], v[1:2]
	v_lshrrev_b32_e32 v1, 20, v124
	v_mul_lo_u16 v1, 0x1e0, v1
	v_sub_nc_u16 v1, v174, v1
	v_lshlrev_b32_sdwa v145, v121, v1 dst_sel:DWORD dst_unused:UNUSED_PAD src0_sel:DWORD src1_sel:WORD_0
	v_add_co_u32 v1, s30, s10, v145
	v_add_co_ci_u32_e64 v2, null, s11, 0, s30
	v_add_co_u32 v1, vcc_lo, 0x1800, v1
	v_add_co_ci_u32_e32 v2, vcc_lo, 0, v2, vcc_lo
	global_load_dwordx4 v[47:50], v[1:2], off offset:1376
	s_waitcnt vmcnt(0)
	buffer_store_dword v47, off, s[36:39], 0 offset:2048 ; 4-byte Folded Spill
	buffer_store_dword v48, off, s[36:39], 0 offset:2052 ; 4-byte Folded Spill
	buffer_store_dword v49, off, s[36:39], 0 offset:2056 ; 4-byte Folded Spill
	buffer_store_dword v50, off, s[36:39], 0 offset:2060 ; 4-byte Folded Spill
	ds_read_b128 v[1:4], v247 offset:55296
	s_waitcnt lgkmcnt(0)
	v_mul_f64 v[45:46], v[3:4], v[49:50]
	v_fma_f64 v[135:136], v[1:2], v[47:48], -v[45:46]
	v_mul_f64 v[1:2], v[1:2], v[49:50]
	v_fma_f64 v[137:138], v[3:4], v[47:48], v[1:2]
	v_lshrrev_b32_e32 v1, 20, v123
	;; [unrolled: 20-line block ×3, first 2 shown]
	v_mul_lo_u16 v1, 0x1e0, v1
	v_sub_nc_u16 v1, v179, v1
	v_lshlrev_b32_sdwa v122, v121, v1 dst_sel:DWORD dst_unused:UNUSED_PAD src0_sel:DWORD src1_sel:WORD_0
	v_add_co_u32 v1, s30, s10, v122
	v_add_co_ci_u32_e64 v2, null, s11, 0, s30
	v_add_co_u32 v1, vcc_lo, 0x1800, v1
	v_add_co_ci_u32_e32 v2, vcc_lo, 0, v2, vcc_lo
	v_cmp_lt_u64_e32 vcc_lo, 0x1df, v[113:114]
	global_load_dwordx4 v[47:50], v[1:2], off offset:1376
	s_waitcnt vmcnt(0)
	buffer_store_dword v47, off, s[36:39], 0 offset:2080 ; 4-byte Folded Spill
	buffer_store_dword v48, off, s[36:39], 0 offset:2084 ; 4-byte Folded Spill
	;; [unrolled: 1-line block ×4, first 2 shown]
	ds_read_b128 v[1:4], v247 offset:59392
	s_waitcnt lgkmcnt(0)
	v_mul_f64 v[45:46], v[3:4], v[49:50]
	v_fma_f64 v[117:118], v[1:2], v[47:48], -v[45:46]
	v_mul_f64 v[1:2], v[1:2], v[49:50]
	v_fma_f64 v[115:116], v[3:4], v[47:48], v[1:2]
	ds_read_b128 v[1:4], v247
	s_waitcnt lgkmcnt(0)
	v_add_f64 v[109:110], v[1:2], -v[7:8]
	v_add_f64 v[111:112], v[3:4], -v[9:10]
	v_fma_f64 v[85:86], v[1:2], 2.0, -v[109:110]
	v_fma_f64 v[87:88], v[3:4], 2.0, -v[111:112]
	ds_read_b128 v[1:4], v247 offset:2048
	s_waitcnt lgkmcnt(0)
	v_add_f64 v[105:106], v[1:2], -v[13:14]
	v_add_f64 v[107:108], v[3:4], -v[15:16]
	v_fma_f64 v[89:90], v[1:2], 2.0, -v[105:106]
	v_fma_f64 v[91:92], v[3:4], 2.0, -v[107:108]
	ds_read_b128 v[1:4], v247 offset:4096
	;; [unrolled: 6-line block ×5, first 2 shown]
	s_waitcnt lgkmcnt(0)
	v_add_f64 v[61:62], v[1:2], -v[11:12]
	v_add_f64 v[63:64], v[3:4], -v[29:30]
	ds_read_b128 v[9:12], v247 offset:26624
	v_fma_f64 v[73:74], v[1:2], 2.0, -v[61:62]
	v_fma_f64 v[75:76], v[3:4], 2.0, -v[63:64]
	ds_read_b128 v[1:4], v247 offset:12288
	s_waitcnt lgkmcnt(0)
	v_add_f64 v[57:58], v[1:2], -v[17:18]
	v_add_f64 v[59:60], v[3:4], -v[31:32]
	v_fma_f64 v[65:66], v[1:2], 2.0, -v[57:58]
	v_fma_f64 v[67:68], v[3:4], 2.0, -v[59:60]
	ds_read_b128 v[1:4], v247 offset:14336
	s_waitcnt lgkmcnt(0)
	v_add_f64 v[45:46], v[1:2], -v[33:34]
	v_add_f64 v[47:48], v[3:4], -v[35:36]
	;; [unrolled: 6-line block ×5, first 2 shown]
	ds_read_b128 v[127:130], v247 offset:28672
	v_fma_f64 v[33:34], v[1:2], 2.0, -v[25:26]
	v_fma_f64 v[35:36], v[3:4], 2.0, -v[27:28]
	ds_read_b128 v[1:4], v247 offset:22528
	s_waitcnt lgkmcnt(0)
	v_add_f64 v[13:14], v[1:2], -v[131:132]
	v_add_f64 v[15:16], v[3:4], -v[133:134]
	v_add_f64 v[131:132], v[127:128], -v[117:118]
	v_add_f64 v[133:134], v[129:130], -v[115:116]
	v_fma_f64 v[21:22], v[1:2], 2.0, -v[13:14]
	v_fma_f64 v[23:24], v[3:4], 2.0, -v[15:16]
	ds_read_b128 v[1:4], v247 offset:24576
	s_waitcnt lgkmcnt(0)
	s_waitcnt_vscnt null, 0x0
	s_barrier
	buffer_gl0_inv
	ds_write_b128 v247, v[109:112] offset:7680
	ds_write_b128 v247, v[105:108] offset:9728
	;; [unrolled: 1-line block ×3, first 2 shown]
	ds_write_b128 v247, v[85:88]
	ds_write_b128 v247, v[89:92] offset:2048
	ds_write_b128 v247, v[97:100] offset:4096
	v_cndmask_b32_e64 v85, 0, 0x3c0, vcc_lo
	v_fma_f64 v[115:116], v[127:128], 2.0, -v[131:132]
	v_fma_f64 v[117:118], v[129:130], 2.0, -v[133:134]
	v_add_lshl_u32 v0, v85, v0, 4
	buffer_store_dword v0, off, s[36:39], 0 offset:2128 ; 4-byte Folded Spill
	ds_write_b128 v0, v[93:96]
	ds_write_b128 v0, v[77:80] offset:7680
	ds_write_b128 v247, v[81:84] offset:15872
	;; [unrolled: 1-line block ×7, first 2 shown]
	v_mad_u16 v0, 0x3c0, v119, v120
	v_add_f64 v[5:6], v[1:2], -v[135:136]
	v_add_f64 v[7:8], v[3:4], -v[137:138]
	v_lshlrev_b32_sdwa v0, v121, v0 dst_sel:DWORD dst_unused:UNUSED_PAD src0_sel:DWORD src1_sel:WORD_0
	buffer_store_dword v0, off, s[36:39], 0 offset:2124 ; 4-byte Folded Spill
	ds_write_b128 v0, v[53:56]
	ds_write_b128 v0, v[45:48] offset:7680
	v_mad_u16 v0, 0x3c0, v125, v126
	buffer_store_dword v139, off, s[36:39], 0 offset:2120 ; 4-byte Folded Spill
	ds_write_b128 v139, v[49:52] offset:30720
	ds_write_b128 v139, v[37:40] offset:38400
	buffer_store_dword v143, off, s[36:39], 0 offset:2116 ; 4-byte Folded Spill
	ds_write_b128 v143, v[41:44] offset:30720
	ds_write_b128 v143, v[29:32] offset:38400
	v_lshlrev_b32_sdwa v0, v121, v0 dst_sel:DWORD dst_unused:UNUSED_PAD src0_sel:DWORD src1_sel:WORD_0
	buffer_store_dword v144, off, s[36:39], 0 offset:2112 ; 4-byte Folded Spill
	ds_write_b128 v144, v[33:36] offset:30720
	ds_write_b128 v144, v[25:28] offset:38400
	buffer_store_dword v0, off, s[36:39], 0 offset:2108 ; 4-byte Folded Spill
	ds_write_b128 v0, v[21:24]
	ds_write_b128 v0, v[13:16] offset:7680
	buffer_store_dword v145, off, s[36:39], 0 offset:2104 ; 4-byte Folded Spill
	v_fma_f64 v[17:18], v[1:2], 2.0, -v[5:6]
	v_fma_f64 v[19:20], v[3:4], 2.0, -v[7:8]
	v_add_f64 v[1:2], v[9:10], -v[123:124]
	v_add_f64 v[3:4], v[11:12], -v[141:142]
	ds_write_b128 v145, v[17:20] offset:46080
	ds_write_b128 v145, v[5:8] offset:53760
	v_fma_f64 v[9:10], v[9:10], 2.0, -v[1:2]
	v_fma_f64 v[11:12], v[11:12], 2.0, -v[3:4]
	buffer_store_dword v146, off, s[36:39], 0 offset:2100 ; 4-byte Folded Spill
	ds_write_b128 v146, v[9:12] offset:46080
	ds_write_b128 v146, v[1:4] offset:53760
	v_add_co_u32 v4, vcc_lo, 0x3800, v147
	v_add_co_ci_u32_e32 v5, vcc_lo, 0, v148, vcc_lo
	buffer_store_dword v122, off, s[36:39], 0 offset:2096 ; 4-byte Folded Spill
	ds_write_b128 v122, v[115:118] offset:46080
	ds_write_b128 v122, v[131:134] offset:53760
	s_waitcnt lgkmcnt(0)
	s_waitcnt_vscnt null, 0x0
	s_barrier
	buffer_gl0_inv
	global_load_dwordx4 v[8:11], v[4:5], off offset:864
	s_waitcnt vmcnt(0)
	buffer_store_dword v8, off, s[36:39], 0 offset:2132 ; 4-byte Folded Spill
	buffer_store_dword v9, off, s[36:39], 0 offset:2136 ; 4-byte Folded Spill
	buffer_store_dword v10, off, s[36:39], 0 offset:2140 ; 4-byte Folded Spill
	buffer_store_dword v11, off, s[36:39], 0 offset:2144 ; 4-byte Folded Spill
	ds_read_b128 v[0:3], v247 offset:30720
	v_mov_b32_e32 v141, v114
	s_waitcnt lgkmcnt(0)
	v_mul_f64 v[6:7], v[2:3], v[10:11]
	v_fma_f64 v[6:7], v[0:1], v[8:9], -v[6:7]
	v_mul_f64 v[0:1], v[0:1], v[10:11]
	v_add_co_u32 v10, vcc_lo, 0x4000, v147
	v_add_co_ci_u32_e32 v11, vcc_lo, 0, v148, vcc_lo
	global_load_dwordx4 v[14:17], v[10:11], off offset:864
	s_waitcnt vmcnt(0)
	buffer_store_dword v14, off, s[36:39], 0 offset:2148 ; 4-byte Folded Spill
	buffer_store_dword v15, off, s[36:39], 0 offset:2152 ; 4-byte Folded Spill
	buffer_store_dword v16, off, s[36:39], 0 offset:2156 ; 4-byte Folded Spill
	buffer_store_dword v17, off, s[36:39], 0 offset:2160 ; 4-byte Folded Spill
	v_fma_f64 v[8:9], v[2:3], v[8:9], v[0:1]
	ds_read_b128 v[0:3], v247 offset:32768
	s_waitcnt lgkmcnt(0)
	v_mul_f64 v[12:13], v[2:3], v[16:17]
	v_fma_f64 v[12:13], v[0:1], v[14:15], -v[12:13]
	v_mul_f64 v[0:1], v[0:1], v[16:17]
	v_add_co_u32 v16, vcc_lo, 0x4800, v147
	v_add_co_ci_u32_e32 v17, vcc_lo, 0, v148, vcc_lo
	global_load_dwordx4 v[20:23], v[16:17], off offset:864
	s_waitcnt vmcnt(0)
	buffer_store_dword v20, off, s[36:39], 0 offset:2164 ; 4-byte Folded Spill
	buffer_store_dword v21, off, s[36:39], 0 offset:2168 ; 4-byte Folded Spill
	buffer_store_dword v22, off, s[36:39], 0 offset:2172 ; 4-byte Folded Spill
	buffer_store_dword v23, off, s[36:39], 0 offset:2176 ; 4-byte Folded Spill
	v_fma_f64 v[14:15], v[2:3], v[14:15], v[0:1]
	ds_read_b128 v[0:3], v247 offset:34816
	;; [unrolled: 14-line block ×3, first 2 shown]
	ds_read_b128 v[149:152], v247 offset:28672
	s_clause 0x3
	global_load_dwordx4 v[169:172], v[22:23], off offset:1888
	global_load_dwordx4 v[177:180], v[10:11], off offset:1888
	;; [unrolled: 1-line block ×4, first 2 shown]
	s_waitcnt lgkmcnt(1)
	v_mul_f64 v[24:25], v[2:3], v[32:33]
	v_fma_f64 v[28:29], v[0:1], v[30:31], -v[24:25]
	v_add_co_u32 v24, vcc_lo, 0x5800, v147
	v_add_co_ci_u32_e32 v25, vcc_lo, 0, v148, vcc_lo
	v_mul_f64 v[0:1], v[0:1], v[32:33]
	s_clause 0x1
	global_load_dwordx4 v[241:244], v[24:25], off offset:864
	global_load_dwordx4 v[165:168], v[24:25], off offset:1888
	v_fma_f64 v[30:31], v[2:3], v[30:31], v[0:1]
	ds_read_b128 v[0:3], v247 offset:38912
	s_waitcnt vmcnt(1) lgkmcnt(0)
	v_mul_f64 v[26:27], v[2:3], v[243:244]
	v_fma_f64 v[32:33], v[0:1], v[241:242], -v[26:27]
	v_add_co_u32 v26, vcc_lo, 0x6000, v147
	v_add_co_ci_u32_e32 v27, vcc_lo, 0, v148, vcc_lo
	v_mul_f64 v[0:1], v[0:1], v[243:244]
	s_clause 0x1
	global_load_dwordx4 v[237:240], v[26:27], off offset:864
	global_load_dwordx4 v[161:164], v[26:27], off offset:1888
	v_fma_f64 v[34:35], v[2:3], v[241:242], v[0:1]
	ds_read_b128 v[0:3], v247 offset:40960
	s_waitcnt vmcnt(1) lgkmcnt(0)
	v_mul_f64 v[36:37], v[2:3], v[239:240]
	v_fma_f64 v[40:41], v[0:1], v[237:238], -v[36:37]
	v_add_co_u32 v36, vcc_lo, 0x6800, v147
	v_add_co_ci_u32_e32 v37, vcc_lo, 0, v148, vcc_lo
	v_mul_f64 v[0:1], v[0:1], v[239:240]
	v_cmp_gt_u64_e32 vcc_lo, 0x3c0, v[140:141]
	s_clause 0x1
	global_load_dwordx4 v[233:236], v[36:37], off offset:864
	global_load_dwordx4 v[157:160], v[36:37], off offset:1888
	v_fma_f64 v[42:43], v[2:3], v[237:238], v[0:1]
	ds_read_b128 v[0:3], v247 offset:43008
	s_waitcnt vmcnt(1) lgkmcnt(0)
	v_mul_f64 v[38:39], v[2:3], v[235:236]
	v_fma_f64 v[48:49], v[0:1], v[233:234], -v[38:39]
	v_mul_f64 v[0:1], v[0:1], v[235:236]
	v_fma_f64 v[50:51], v[2:3], v[233:234], v[0:1]
	v_add_co_u32 v0, s30, 0xffffffc0, v253
	v_add_co_ci_u32_e64 v1, null, 0, -1, s30
	v_cndmask_b32_e32 v142, v0, v140, vcc_lo
	v_cndmask_b32_e64 v143, v1, 0, vcc_lo
	v_lshlrev_b64 v[0:1], 4, v[142:143]
	v_add_co_u32 v0, vcc_lo, s10, v0
	v_add_co_ci_u32_e32 v1, vcc_lo, s11, v1, vcc_lo
	v_add_co_u32 v0, vcc_lo, 0x3800, v0
	v_add_co_ci_u32_e32 v1, vcc_lo, 0, v1, vcc_lo
	v_cmp_lt_u64_e32 vcc_lo, 0x3bf, v[140:141]
	global_load_dwordx4 v[229:232], v[0:1], off offset:864
	ds_read_b128 v[0:3], v247 offset:45056
	s_waitcnt vmcnt(0) lgkmcnt(0)
	v_mul_f64 v[38:39], v[2:3], v[231:232]
	v_fma_f64 v[52:53], v[0:1], v[229:230], -v[38:39]
	v_mul_f64 v[0:1], v[0:1], v[231:232]
	v_fma_f64 v[54:55], v[2:3], v[229:230], v[0:1]
	ds_read_b128 v[0:3], v247 offset:47104
	s_waitcnt lgkmcnt(0)
	v_mul_f64 v[4:5], v[2:3], v[183:184]
	v_fma_f64 v[4:5], v[0:1], v[181:182], -v[4:5]
	v_mul_f64 v[0:1], v[0:1], v[183:184]
	v_fma_f64 v[64:65], v[2:3], v[181:182], v[0:1]
	ds_read_b128 v[0:3], v247 offset:49152
	s_waitcnt lgkmcnt(0)
	;; [unrolled: 6-line block ×7, first 2 shown]
	v_mul_f64 v[22:23], v[2:3], v[159:160]
	v_fma_f64 v[128:129], v[0:1], v[157:158], -v[22:23]
	v_mul_f64 v[0:1], v[0:1], v[159:160]
	v_add_f64 v[153:154], v[149:150], -v[128:129]
	v_fma_f64 v[130:131], v[2:3], v[157:158], v[0:1]
	ds_read_b128 v[0:3], v247
	s_waitcnt lgkmcnt(0)
	v_add_f64 v[108:109], v[0:1], -v[6:7]
	v_add_f64 v[110:111], v[2:3], -v[8:9]
	;; [unrolled: 1-line block ×3, first 2 shown]
	v_fma_f64 v[149:150], v[149:150], 2.0, -v[153:154]
	v_fma_f64 v[24:25], v[0:1], 2.0, -v[108:109]
	;; [unrolled: 1-line block ×3, first 2 shown]
	ds_read_b128 v[0:3], v247 offset:2048
	v_fma_f64 v[151:152], v[151:152], 2.0, -v[155:156]
	s_waitcnt lgkmcnt(0)
	v_add_f64 v[104:105], v[0:1], -v[12:13]
	v_add_f64 v[106:107], v[2:3], -v[14:15]
	v_fma_f64 v[36:37], v[0:1], 2.0, -v[104:105]
	v_fma_f64 v[38:39], v[2:3], 2.0, -v[106:107]
	ds_read_b128 v[0:3], v247 offset:4096
	s_waitcnt lgkmcnt(0)
	v_add_f64 v[100:101], v[0:1], -v[18:19]
	v_add_f64 v[102:103], v[2:3], -v[20:21]
	v_fma_f64 v[44:45], v[0:1], 2.0, -v[100:101]
	v_fma_f64 v[46:47], v[2:3], 2.0, -v[102:103]
	ds_read_b128 v[0:3], v247 offset:6144
	;; [unrolled: 6-line block ×8, first 2 shown]
	s_waitcnt lgkmcnt(0)
	v_add_f64 v[32:33], v[0:1], -v[10:11]
	v_add_f64 v[34:35], v[2:3], -v[112:113]
	ds_read_b128 v[8:11], v247 offset:26624
	v_fma_f64 v[52:53], v[0:1], 2.0, -v[32:33]
	v_fma_f64 v[54:55], v[2:3], 2.0, -v[34:35]
	ds_read_b128 v[0:3], v247 offset:20480
	s_waitcnt lgkmcnt(0)
	v_add_f64 v[20:21], v[0:1], -v[16:17]
	v_add_f64 v[22:23], v[2:3], -v[114:115]
	v_fma_f64 v[40:41], v[0:1], 2.0, -v[20:21]
	v_fma_f64 v[42:43], v[2:3], 2.0, -v[22:23]
	ds_read_b128 v[0:3], v247 offset:22528
	s_waitcnt lgkmcnt(0)
	v_add_f64 v[12:13], v[0:1], -v[116:117]
	v_add_f64 v[14:15], v[2:3], -v[118:119]
	v_fma_f64 v[28:29], v[0:1], 2.0, -v[12:13]
	v_fma_f64 v[30:31], v[2:3], 2.0, -v[14:15]
	ds_read_b128 v[0:3], v247 offset:24576
	s_waitcnt lgkmcnt(0)
	s_waitcnt_vscnt null, 0x0
	s_barrier
	buffer_gl0_inv
	ds_write_b128 v247, v[108:111] offset:15360
	ds_write_b128 v247, v[104:107] offset:17408
	ds_write_b128 v247, v[100:103] offset:19456
	ds_write_b128 v247, v[96:99] offset:21504
	ds_write_b128 v247, v[92:95] offset:23552
	ds_write_b128 v247, v[88:91] offset:25600
	ds_write_b128 v247, v[84:87] offset:27648
	ds_write_b128 v247, v[24:27]
	ds_write_b128 v247, v[36:39] offset:2048
	ds_write_b128 v247, v[44:47] offset:4096
	;; [unrolled: 1-line block ×6, first 2 shown]
	v_cndmask_b32_e64 v24, 0, 0x780, vcc_lo
	v_add_lshl_u32 v24, v24, v142, 4
	buffer_store_dword v24, off, s[36:39], 0 offset:2212 ; 4-byte Folded Spill
	v_add_f64 v[4:5], v[0:1], -v[120:121]
	v_add_f64 v[6:7], v[2:3], -v[122:123]
	v_fma_f64 v[16:17], v[0:1], 2.0, -v[4:5]
	v_fma_f64 v[18:19], v[2:3], 2.0, -v[6:7]
	v_add_f64 v[0:1], v[8:9], -v[124:125]
	v_add_f64 v[2:3], v[10:11], -v[126:127]
	v_fma_f64 v[8:9], v[8:9], 2.0, -v[0:1]
	v_fma_f64 v[10:11], v[10:11], 2.0, -v[2:3]
	ds_write_b128 v24, v[76:79]
	ds_write_b128 v24, v[60:63] offset:15360
	ds_write_b128 v247, v[64:67] offset:31744
	;; [unrolled: 1-line block ×15, first 2 shown]
	v_add_co_u32 v0, vcc_lo, 0x7000, v147
	v_add_co_ci_u32_e32 v1, vcc_lo, 0, v148, vcc_lo
	s_waitcnt lgkmcnt(0)
	s_waitcnt_vscnt null, 0x0
	s_barrier
	buffer_gl0_inv
	global_load_dwordx4 v[149:152], v[0:1], off offset:1888
	ds_read_b128 v[0:3], v247 offset:30720
	s_waitcnt vmcnt(0) lgkmcnt(0)
	v_mul_f64 v[4:5], v[2:3], v[151:152]
	v_fma_f64 v[8:9], v[0:1], v[149:150], -v[4:5]
	v_mul_f64 v[0:1], v[0:1], v[151:152]
	v_fma_f64 v[10:11], v[2:3], v[149:150], v[0:1]
	v_add_co_u32 v0, vcc_lo, 0x7800, v147
	v_add_co_ci_u32_e32 v1, vcc_lo, 0, v148, vcc_lo
	global_load_dwordx4 v[193:196], v[0:1], off offset:1888
	ds_read_b128 v[0:3], v247 offset:32768
	s_waitcnt vmcnt(0) lgkmcnt(0)
	v_mul_f64 v[4:5], v[2:3], v[195:196]
	v_fma_f64 v[12:13], v[0:1], v[193:194], -v[4:5]
	v_mul_f64 v[0:1], v[0:1], v[195:196]
	v_fma_f64 v[14:15], v[2:3], v[193:194], v[0:1]
	v_add_co_u32 v0, vcc_lo, 0x8000, v147
	v_add_co_ci_u32_e32 v1, vcc_lo, 0, v148, vcc_lo
	;; [unrolled: 9-line block ×12, first 2 shown]
	global_load_dwordx4 v[58:61], v[0:1], off offset:1888
	s_waitcnt vmcnt(0)
	buffer_store_dword v58, off, s[36:39], 0 offset:2196 ; 4-byte Folded Spill
	buffer_store_dword v59, off, s[36:39], 0 offset:2200 ; 4-byte Folded Spill
	;; [unrolled: 1-line block ×4, first 2 shown]
	ds_read_b128 v[0:3], v247 offset:55296
	s_waitcnt lgkmcnt(0)
	v_mul_f64 v[4:5], v[2:3], v[60:61]
	v_fma_f64 v[56:57], v[0:1], v[58:59], -v[4:5]
	v_mul_f64 v[0:1], v[0:1], v[60:61]
	v_fma_f64 v[58:59], v[2:3], v[58:59], v[0:1]
	v_add_co_u32 v0, vcc_lo, 0xd800, v147
	v_add_co_ci_u32_e32 v1, vcc_lo, 0, v148, vcc_lo
	global_load_dwordx4 v[153:156], v[0:1], off offset:1888
	ds_read_b128 v[0:3], v247 offset:57344
	s_waitcnt vmcnt(0) lgkmcnt(0)
	v_mul_f64 v[4:5], v[2:3], v[155:156]
	v_fma_f64 v[116:117], v[0:1], v[153:154], -v[4:5]
	v_mul_f64 v[0:1], v[0:1], v[155:156]
	v_fma_f64 v[118:119], v[2:3], v[153:154], v[0:1]
	v_add_co_u32 v0, vcc_lo, 0xe000, v147
	v_add_co_ci_u32_e32 v1, vcc_lo, 0, v148, vcc_lo
	global_load_dwordx4 v[144:147], v[0:1], off offset:1888
	ds_read_b128 v[0:3], v247 offset:59392
	s_waitcnt vmcnt(0) lgkmcnt(0)
	v_mul_f64 v[4:5], v[2:3], v[146:147]
	v_fma_f64 v[140:141], v[0:1], v[144:145], -v[4:5]
	ds_read_b128 v[4:7], v247
	v_mul_f64 v[0:1], v[0:1], v[146:147]
	s_waitcnt lgkmcnt(0)
	v_add_f64 v[60:61], v[4:5], -v[8:9]
	v_add_f64 v[62:63], v[6:7], -v[10:11]
	ds_read_b128 v[8:11], v247 offset:2048
	v_fma_f64 v[254:255], v[2:3], v[144:145], v[0:1]
	ds_read_b128 v[0:3], v247 offset:28672
	s_waitcnt lgkmcnt(1)
	v_add_f64 v[64:65], v[8:9], -v[12:13]
	v_add_f64 v[66:67], v[10:11], -v[14:15]
	ds_read_b128 v[12:15], v247 offset:4096
	v_fma_f64 v[114:115], v[6:7], 2.0, -v[62:63]
	s_waitcnt lgkmcnt(1)
	v_add_f64 v[6:7], v[2:3], -v[254:255]
	v_fma_f64 v[112:113], v[4:5], 2.0, -v[60:61]
	v_add_f64 v[4:5], v[0:1], -v[140:141]
	v_fma_f64 v[108:109], v[8:9], 2.0, -v[64:65]
	v_fma_f64 v[110:111], v[10:11], 2.0, -v[66:67]
	s_waitcnt lgkmcnt(0)
	v_add_f64 v[8:9], v[12:13], -v[16:17]
	v_add_f64 v[10:11], v[14:15], -v[18:19]
	ds_read_b128 v[16:19], v247 offset:6144
	v_fma_f64 v[2:3], v[2:3], 2.0, -v[6:7]
	v_fma_f64 v[0:1], v[0:1], 2.0, -v[4:5]
	;; [unrolled: 1-line block ×4, first 2 shown]
	s_waitcnt lgkmcnt(0)
	v_add_f64 v[12:13], v[16:17], -v[20:21]
	v_add_f64 v[14:15], v[18:19], -v[22:23]
	ds_read_b128 v[20:23], v247 offset:8192
	v_fma_f64 v[100:101], v[16:17], 2.0, -v[12:13]
	v_fma_f64 v[102:103], v[18:19], 2.0, -v[14:15]
	s_waitcnt lgkmcnt(0)
	v_add_f64 v[16:17], v[20:21], -v[24:25]
	v_add_f64 v[18:19], v[22:23], -v[26:27]
	ds_read_b128 v[24:27], v247 offset:10240
	v_fma_f64 v[96:97], v[20:21], 2.0, -v[16:17]
	v_fma_f64 v[98:99], v[22:23], 2.0, -v[18:19]
	;; [unrolled: 6-line block ×10, first 2 shown]
	s_waitcnt lgkmcnt(0)
	v_add_f64 v[52:53], v[56:57], -v[116:117]
	v_add_f64 v[54:55], v[58:59], -v[118:119]
	v_fma_f64 v[56:57], v[56:57], 2.0, -v[52:53]
	v_fma_f64 v[58:59], v[58:59], 2.0, -v[54:55]
	ds_write_b128 v247, v[60:63] offset:30720
	ds_write_b128 v247, v[64:67] offset:32768
	;; [unrolled: 1-line block ×15, first 2 shown]
	ds_write_b128 v247, v[112:115]
	ds_write_b128 v247, v[108:111] offset:2048
	ds_write_b128 v247, v[104:107] offset:4096
	;; [unrolled: 1-line block ×14, first 2 shown]
	s_waitcnt lgkmcnt(0)
	s_waitcnt_vscnt null, 0x0
	s_barrier
	buffer_gl0_inv
	global_load_dwordx4 v[2:5], v247, s[6:7]
	ds_read_b128 v[6:9], v247
	ds_read_b128 v[98:101], v247 offset:57344
	ds_read_b128 v[10:13], v247 offset:6144
	ds_read_b128 v[104:107], v247 offset:4096
	ds_read_b128 v[14:17], v247 offset:12288
	ds_read_b128 v[56:59], v247 offset:14336
	ds_read_b128 v[18:21], v247 offset:18432
	ds_read_b128 v[249:252], v247 offset:16384
	ds_read_b128 v[22:25], v247 offset:24576
	ds_read_b128 v[62:65], v247 offset:20480
	ds_read_b128 v[26:29], v247 offset:30720
	ds_read_b128 v[68:71], v247 offset:26624
	ds_read_b128 v[30:33], v247 offset:36864
	ds_read_b128 v[74:77], v247 offset:32768
	ds_read_b128 v[34:37], v247 offset:43008
	ds_read_b128 v[80:83], v247 offset:38912
	ds_read_b128 v[38:41], v247 offset:49152
	ds_read_b128 v[86:89], v247 offset:45056
	ds_read_b128 v[42:45], v247 offset:55296
	ds_read_b128 v[92:95], v247 offset:51200
	ds_read_b128 v[50:53], v247 offset:8192
	ds_read_b128 v[110:113], v247 offset:10240
	s_waitcnt vmcnt(0) lgkmcnt(21)
	v_mul_f64 v[0:1], v[8:9], v[4:5]
	v_mul_f64 v[4:5], v[6:7], v[4:5]
	v_fma_f64 v[140:141], v[6:7], v[2:3], -v[0:1]
	buffer_load_dword v0, off, s[36:39], 0 offset:480 ; 4-byte Folded Reload
	v_fma_f64 v[142:143], v[8:9], v[2:3], v[4:5]
	s_waitcnt vmcnt(0)
	global_load_dwordx4 v[6:9], v0, s[6:7]
	s_waitcnt vmcnt(0) lgkmcnt(19)
	v_mul_f64 v[0:1], v[12:13], v[8:9]
	v_mul_f64 v[2:3], v[10:11], v[8:9]
	v_fma_f64 v[136:137], v[10:11], v[6:7], -v[0:1]
	buffer_load_dword v0, off, s[36:39], 0 offset:484 ; 4-byte Folded Reload
	v_fma_f64 v[138:139], v[12:13], v[6:7], v[2:3]
	s_waitcnt vmcnt(0)
	global_load_dwordx4 v[10:13], v0, s[6:7]
	;; [unrolled: 8-line block ×4, first 2 shown]
	s_waitcnt vmcnt(0) lgkmcnt(13)
	v_mul_f64 v[0:1], v[24:25], v[20:21]
	v_mul_f64 v[2:3], v[22:23], v[20:21]
	v_fma_f64 v[124:125], v[22:23], v[18:19], -v[0:1]
	v_or_b32_e32 v0, 0x7800, v247
	v_fma_f64 v[126:127], v[24:25], v[18:19], v[2:3]
	global_load_dwordx4 v[22:25], v0, s[6:7]
	s_waitcnt vmcnt(0) lgkmcnt(11)
	v_mul_f64 v[0:1], v[28:29], v[24:25]
	v_mul_f64 v[2:3], v[26:27], v[24:25]
	v_fma_f64 v[120:121], v[26:27], v[22:23], -v[0:1]
	v_or_b32_e32 v0, 0x9000, v247
	v_fma_f64 v[122:123], v[28:29], v[22:23], v[2:3]
	global_load_dwordx4 v[26:29], v0, s[6:7]
	;; [unrolled: 7-line block ×5, first 2 shown]
	s_waitcnt vmcnt(0) lgkmcnt(3)
	v_mul_f64 v[0:1], v[44:45], v[40:41]
	v_mul_f64 v[2:3], v[42:43], v[40:41]
	v_fma_f64 v[36:37], v[42:43], v[38:39], -v[0:1]
	buffer_load_dword v0, off, s[36:39], 0 offset:524 ; 4-byte Folded Reload
	v_fma_f64 v[38:39], v[44:45], v[38:39], v[2:3]
	ds_read_b128 v[44:47], v247 offset:2048
	s_waitcnt vmcnt(0)
	global_load_dwordx4 v[40:43], v0, s[6:7]
	s_waitcnt vmcnt(0) lgkmcnt(0)
	v_mul_f64 v[0:1], v[46:47], v[42:43]
	v_mul_f64 v[2:3], v[44:45], v[42:43]
	v_fma_f64 v[42:43], v[44:45], v[40:41], -v[0:1]
	buffer_load_dword v0, off, s[36:39], 0 offset:496 ; 4-byte Folded Reload
	v_fma_f64 v[44:45], v[46:47], v[40:41], v[2:3]
	s_waitcnt vmcnt(0)
	global_load_dwordx4 v[46:49], v0, s[6:7]
	s_waitcnt vmcnt(0)
	v_mul_f64 v[0:1], v[52:53], v[48:49]
	v_mul_f64 v[2:3], v[50:51], v[48:49]
	v_fma_f64 v[48:49], v[50:51], v[46:47], -v[0:1]
	buffer_load_dword v0, off, s[36:39], 0 offset:500 ; 4-byte Folded Reload
	v_fma_f64 v[50:51], v[52:53], v[46:47], v[2:3]
	s_waitcnt vmcnt(0)
	global_load_dwordx4 v[52:55], v0, s[6:7]
	s_waitcnt vmcnt(0)
	;; [unrolled: 8-line block ×4, first 2 shown]
	v_mul_f64 v[0:1], v[70:71], v[66:67]
	v_mul_f64 v[2:3], v[68:69], v[66:67]
	v_fma_f64 v[66:67], v[68:69], v[64:65], -v[0:1]
	v_or_b32_e32 v0, 0x8000, v247
	v_fma_f64 v[68:69], v[70:71], v[64:65], v[2:3]
	global_load_dwordx4 v[70:73], v0, s[6:7]
	s_waitcnt vmcnt(0)
	v_mul_f64 v[0:1], v[76:77], v[72:73]
	v_mul_f64 v[2:3], v[74:75], v[72:73]
	v_fma_f64 v[72:73], v[74:75], v[70:71], -v[0:1]
	v_or_b32_e32 v0, 0x9800, v247
	v_fma_f64 v[74:75], v[76:77], v[70:71], v[2:3]
	global_load_dwordx4 v[76:79], v0, s[6:7]
	s_waitcnt vmcnt(0)
	;; [unrolled: 7-line block ×5, first 2 shown]
	v_mul_f64 v[0:1], v[100:101], v[96:97]
	v_mul_f64 v[2:3], v[98:99], v[96:97]
	v_fma_f64 v[96:97], v[98:99], v[94:95], -v[0:1]
	buffer_load_dword v0, off, s[36:39], 0 offset:528 ; 4-byte Folded Reload
	v_fma_f64 v[98:99], v[100:101], v[94:95], v[2:3]
	s_waitcnt vmcnt(0)
	global_load_dwordx4 v[100:103], v0, s[6:7]
	s_waitcnt vmcnt(0)
	v_mul_f64 v[0:1], v[106:107], v[102:103]
	v_mul_f64 v[2:3], v[104:105], v[102:103]
	v_fma_f64 v[102:103], v[104:105], v[100:101], -v[0:1]
	buffer_load_dword v0, off, s[36:39], 0 offset:512 ; 4-byte Folded Reload
	v_fma_f64 v[104:105], v[106:107], v[100:101], v[2:3]
	s_waitcnt vmcnt(0)
	global_load_dwordx4 v[106:109], v0, s[6:7]
	s_waitcnt vmcnt(0)
	;; [unrolled: 8-line block ×3, first 2 shown]
	v_mul_f64 v[0:1], v[251:252], v[114:115]
	v_mul_f64 v[2:3], v[249:250], v[114:115]
	v_fma_f64 v[249:250], v[249:250], v[112:113], -v[0:1]
	buffer_load_dword v0, off, s[36:39], 0 offset:520 ; 4-byte Folded Reload
	v_fma_f64 v[251:252], v[251:252], v[112:113], v[2:3]
	s_waitcnt vmcnt(0)
	global_load_dwordx4 v[112:115], v0, s[6:7]
	ds_read_b128 v[0:3], v247 offset:22528
	s_waitcnt vmcnt(0) lgkmcnt(0)
	v_mul_f64 v[4:5], v[2:3], v[114:115]
	v_mul_f64 v[6:7], v[0:1], v[114:115]
	v_fma_f64 v[24:25], v[0:1], v[112:113], -v[4:5]
	buffer_load_dword v0, off, s[36:39], 0 offset:540 ; 4-byte Folded Reload
	v_fma_f64 v[26:27], v[2:3], v[112:113], v[6:7]
	s_waitcnt vmcnt(0)
	global_load_dwordx4 v[112:115], v0, s[6:7]
	ds_read_b128 v[0:3], v247 offset:28672
	s_waitcnt vmcnt(0) lgkmcnt(0)
	v_mul_f64 v[4:5], v[2:3], v[114:115]
	v_mul_f64 v[6:7], v[0:1], v[114:115]
	v_fma_f64 v[20:21], v[0:1], v[112:113], -v[4:5]
	v_or_b32_e32 v0, 0x8800, v247
	v_fma_f64 v[22:23], v[2:3], v[112:113], v[6:7]
	global_load_dwordx4 v[112:115], v0, s[6:7]
	ds_read_b128 v[0:3], v247 offset:34816
	s_waitcnt vmcnt(0) lgkmcnt(0)
	v_mul_f64 v[4:5], v[2:3], v[114:115]
	v_mul_f64 v[6:7], v[0:1], v[114:115]
	v_fma_f64 v[16:17], v[0:1], v[112:113], -v[4:5]
	v_or_b32_e32 v0, 0xa000, v247
	v_fma_f64 v[18:19], v[2:3], v[112:113], v[6:7]
	;; [unrolled: 8-line block ×5, first 2 shown]
	global_load_dwordx4 v[112:115], v0, s[6:7]
	ds_read_b128 v[0:3], v247 offset:59392
	s_waitcnt vmcnt(0) lgkmcnt(0)
	v_mul_f64 v[40:41], v[2:3], v[114:115]
	v_mul_f64 v[46:47], v[0:1], v[114:115]
	v_fma_f64 v[0:1], v[0:1], v[112:113], -v[40:41]
	v_fma_f64 v[2:3], v[2:3], v[112:113], v[46:47]
	ds_write_b128 v247, v[140:143]
	ds_write_b128 v247, v[136:139] offset:6144
	ds_write_b128 v247, v[132:135] offset:12288
	;; [unrolled: 1-line block ×29, first 2 shown]
	s_waitcnt lgkmcnt(0)
	s_barrier
	buffer_gl0_inv
	ds_read_b128 v[0:3], v247 offset:12288
	ds_read_b128 v[4:7], v247
	ds_read_b128 v[8:11], v247 offset:24576
	s_waitcnt lgkmcnt(1)
	v_add_f64 v[12:13], v[4:5], v[0:1]
	s_waitcnt lgkmcnt(0)
	v_add_f64 v[22:23], v[0:1], -v[8:9]
	v_add_f64 v[42:43], v[8:9], -v[0:1]
	;; [unrolled: 1-line block ×4, first 2 shown]
	v_add_f64 v[16:17], v[12:13], v[8:9]
	v_add_f64 v[12:13], v[6:7], v[2:3]
	;; [unrolled: 1-line block ×3, first 2 shown]
	ds_read_b128 v[12:15], v247 offset:36864
	s_waitcnt lgkmcnt(0)
	v_add_f64 v[20:21], v[8:9], v[12:13]
	v_add_f64 v[40:41], v[10:11], -v[14:15]
	v_add_f64 v[24:25], v[10:11], v[14:15]
	v_add_f64 v[44:45], v[8:9], -v[12:13]
	ds_read_b128 v[8:11], v247 offset:49152
	s_waitcnt lgkmcnt(0)
	v_add_f64 v[48:49], v[2:3], -v[10:11]
	v_add_f64 v[26:27], v[0:1], v[8:9]
	v_add_f64 v[50:51], v[0:1], -v[8:9]
	v_add_f64 v[30:31], v[2:3], v[10:11]
	v_add_f64 v[0:1], v[16:17], v[12:13]
	;; [unrolled: 1-line block ×3, first 2 shown]
	v_add_f64 v[32:33], v[8:9], -v[12:13]
	v_add_f64 v[52:53], v[12:13], -v[8:9]
	;; [unrolled: 1-line block ×4, first 2 shown]
	v_add_f64 v[36:37], v[0:1], v[8:9]
	v_add_f64 v[38:39], v[2:3], v[10:11]
	ds_read_b128 v[0:3], v247 offset:18432
	ds_read_b128 v[8:11], v247 offset:6144
	;; [unrolled: 1-line block ×3, first 2 shown]
	v_add_f64 v[84:85], v[28:29], v[34:35]
	s_waitcnt lgkmcnt(1)
	v_add_f64 v[16:17], v[8:9], v[0:1]
	s_waitcnt lgkmcnt(0)
	v_add_f64 v[64:65], v[0:1], -v[12:13]
	v_add_f64 v[66:67], v[12:13], -v[0:1]
	;; [unrolled: 1-line block ×4, first 2 shown]
	v_add_f64 v[56:57], v[16:17], v[12:13]
	v_add_f64 v[16:17], v[10:11], v[2:3]
	;; [unrolled: 1-line block ×3, first 2 shown]
	ds_read_b128 v[16:19], v247 offset:43008
	s_waitcnt lgkmcnt(0)
	v_add_f64 v[68:69], v[14:15], v[18:19]
	v_add_f64 v[60:61], v[12:13], v[16:17]
	v_add_f64 v[62:63], v[14:15], -v[18:19]
	v_add_f64 v[70:71], v[12:13], -v[16:17]
	ds_read_b128 v[12:15], v247 offset:55296
	v_add_f64 v[56:57], v[56:57], v[16:17]
	v_add_f64 v[58:59], v[58:59], v[18:19]
	v_fma_f64 v[68:69], v[68:69], -0.5, v[10:11]
	v_fma_f64 v[60:61], v[60:61], -0.5, v[8:9]
	s_waitcnt lgkmcnt(0)
	v_add_f64 v[76:77], v[2:3], -v[14:15]
	v_add_f64 v[78:79], v[0:1], v[12:13]
	v_add_f64 v[0:1], v[0:1], -v[12:13]
	v_add_f64 v[2:3], v[2:3], v[14:15]
	v_add_f64 v[80:81], v[12:13], -v[16:17]
	v_add_f64 v[16:17], v[16:17], -v[12:13]
	;; [unrolled: 1-line block ×3, first 2 shown]
	v_add_f64 v[12:13], v[56:57], v[12:13]
	v_add_f64 v[18:19], v[18:19], -v[14:15]
	v_add_f64 v[14:15], v[58:59], v[14:15]
	v_fma_f64 v[58:59], v[24:25], -0.5, v[6:7]
	v_fma_f64 v[56:57], v[20:21], -0.5, v[4:5]
	;; [unrolled: 1-line block ×5, first 2 shown]
	v_add_f64 v[78:79], v[22:23], v[32:33]
	v_fma_f64 v[2:3], v[2:3], -0.5, v[10:11]
	v_fma_f64 v[10:11], v[0:1], s[20:21], v[68:69]
	v_add_f64 v[64:65], v[64:65], v[80:81]
	v_add_f64 v[72:73], v[72:73], v[82:83]
	;; [unrolled: 1-line block ×3, first 2 shown]
	v_add_f64 v[36:37], v[36:37], -v[12:13]
	v_fma_f64 v[12:13], v[76:77], s[22:23], v[60:61]
	v_add_f64 v[26:27], v[38:39], v[14:15]
	v_add_f64 v[38:39], v[38:39], -v[14:15]
	v_fma_f64 v[20:21], v[50:51], s[20:21], v[58:59]
	v_fma_f64 v[10:11], v[70:71], s[14:15], v[10:11]
	;; [unrolled: 1-line block ×7, first 2 shown]
	v_mul_f64 v[14:15], v[10:11], s[18:19]
	v_fma_f64 v[14:15], v[12:13], s[24:25], v[14:15]
	v_mul_f64 v[12:13], v[12:13], s[14:15]
	v_fma_f64 v[10:11], v[10:11], s[24:25], v[12:13]
	v_fma_f64 v[12:13], v[48:49], s[22:23], v[56:57]
	v_add_f64 v[30:31], v[20:21], v[10:11]
	v_fma_f64 v[12:13], v[40:41], s[18:19], v[12:13]
	v_add_f64 v[34:35], v[20:21], -v[10:11]
	v_add_f64 v[10:11], v[42:43], v[52:53]
	v_add_f64 v[42:43], v[74:75], v[18:19]
	v_fma_f64 v[18:19], v[62:63], s[20:21], v[8:9]
	v_fma_f64 v[8:9], v[62:63], s[22:23], v[8:9]
	;; [unrolled: 1-line block ×5, first 2 shown]
	v_add_f64 v[28:29], v[12:13], v[14:15]
	v_add_f64 v[32:33], v[12:13], -v[14:15]
	v_add_f64 v[14:15], v[66:67], v[16:17]
	v_fma_f64 v[16:17], v[70:71], s[22:23], v[2:3]
	v_fma_f64 v[2:3], v[70:71], s[20:21], v[2:3]
	v_add_f64 v[12:13], v[46:47], v[54:55]
	v_fma_f64 v[18:19], v[14:15], s[16:17], v[18:19]
	v_fma_f64 v[16:17], v[0:1], s[14:15], v[16:17]
	;; [unrolled: 1-line block ×8, first 2 shown]
	v_mul_f64 v[20:21], v[16:17], s[22:23]
	v_mul_f64 v[16:17], v[16:17], s[16:17]
	v_fma_f64 v[0:1], v[72:73], s[16:17], v[0:1]
	v_fma_f64 v[20:21], v[18:19], s[16:17], v[20:21]
	;; [unrolled: 1-line block ×13, first 2 shown]
	v_mul_f64 v[10:11], v[2:3], s[22:23]
	v_mul_f64 v[2:3], v[2:3], s[26:27]
	v_fma_f64 v[52:53], v[12:13], s[16:17], v[18:19]
	v_fma_f64 v[6:7], v[12:13], s[16:17], v[6:7]
	v_add_f64 v[16:17], v[46:47], v[20:21]
	v_add_f64 v[20:21], v[46:47], -v[20:21]
	v_fma_f64 v[12:13], v[8:9], s[26:27], v[10:11]
	v_fma_f64 v[2:3], v[8:9], s[20:21], v[2:3]
	v_add_f64 v[18:19], v[52:53], v[22:23]
	v_add_f64 v[22:23], v[52:53], -v[22:23]
	v_add_f64 v[8:9], v[4:5], v[12:13]
	v_add_f64 v[10:11], v[6:7], v[2:3]
	v_add_f64 v[12:13], v[4:5], -v[12:13]
	v_add_f64 v[14:15], v[6:7], -v[2:3]
	v_fma_f64 v[2:3], v[48:49], s[20:21], v[56:57]
	v_fma_f64 v[4:5], v[50:51], s[22:23], v[58:59]
	;; [unrolled: 1-line block ×9, first 2 shown]
	v_mul_f64 v[4:5], v[0:1], s[18:19]
	v_mul_f64 v[0:1], v[0:1], s[28:29]
	v_fma_f64 v[4:5], v[2:3], s[28:29], v[4:5]
	v_fma_f64 v[6:7], v[2:3], s[14:15], v[0:1]
	v_add_f64 v[0:1], v[40:41], v[4:5]
	v_add_f64 v[2:3], v[42:43], v[6:7]
	v_add_f64 v[4:5], v[40:41], -v[4:5]
	v_add_f64 v[6:7], v[42:43], -v[6:7]
	ds_read_b128 v[80:83], v247 offset:2048
	ds_read_b128 v[84:87], v247 offset:14336
	;; [unrolled: 1-line block ×20, first 2 shown]
	s_waitcnt lgkmcnt(0)
	s_barrier
	buffer_gl0_inv
	ds_write_b128 v248, v[24:27]
	ds_write_b128 v248, v[36:39] offset:80
	ds_write_b128 v248, v[28:31] offset:16
	;; [unrolled: 1-line block ×9, first 2 shown]
	v_add_f64 v[0:1], v[80:81], v[84:85]
	v_add_f64 v[2:3], v[82:83], v[86:87]
	;; [unrolled: 1-line block ×3, first 2 shown]
	v_add_f64 v[8:9], v[84:85], -v[92:93]
	v_add_f64 v[16:17], v[92:93], -v[84:85]
	;; [unrolled: 1-line block ×4, first 2 shown]
	v_add_f64 v[6:7], v[94:95], v[90:91]
	v_add_f64 v[10:11], v[86:87], -v[94:95]
	v_add_f64 v[18:19], v[94:95], -v[86:87]
	;; [unrolled: 1-line block ×3, first 2 shown]
	v_add_f64 v[12:13], v[84:85], v[96:97]
	v_add_f64 v[38:39], v[84:85], -v[96:97]
	v_add_f64 v[14:15], v[86:87], v[98:99]
	v_add_f64 v[20:21], v[96:97], -v[88:89]
	v_add_f64 v[22:23], v[88:89], -v[96:97]
	;; [unrolled: 1-line block ×4, first 2 shown]
	v_add_f64 v[84:85], v[108:109], v[112:113]
	v_add_f64 v[86:87], v[110:111], -v[114:115]
	v_add_f64 v[122:123], v[118:119], -v[114:115]
	;; [unrolled: 1-line block ×3, first 2 shown]
	v_add_f64 v[0:1], v[0:1], v[92:93]
	v_add_f64 v[2:3], v[2:3], v[94:95]
	v_add_f64 v[92:93], v[110:111], v[114:115]
	v_add_f64 v[94:95], v[108:109], -v[112:113]
	v_fma_f64 v[124:125], v[4:5], -0.5, v[80:81]
	v_fma_f64 v[126:127], v[6:7], -0.5, v[82:83]
	;; [unrolled: 1-line block ×4, first 2 shown]
	v_add_f64 v[26:27], v[18:19], v[26:27]
	v_fma_f64 v[84:85], v[84:85], -0.5, v[100:101]
	v_add_f64 v[0:1], v[0:1], v[88:89]
	v_add_f64 v[2:3], v[2:3], v[90:91]
	v_add_f64 v[88:89], v[104:105], -v[108:109]
	v_add_f64 v[90:91], v[108:109], -v[104:105]
	v_fma_f64 v[92:93], v[92:93], -0.5, v[102:103]
	v_add_f64 v[28:29], v[0:1], v[96:97]
	v_add_f64 v[30:31], v[2:3], v[98:99]
	v_add_f64 v[0:1], v[100:101], v[104:105]
	v_add_f64 v[2:3], v[102:103], v[106:107]
	v_add_f64 v[96:97], v[106:107], -v[110:111]
	v_add_f64 v[98:99], v[110:111], -v[106:107]
	v_add_f64 v[88:89], v[88:89], v[120:121]
	v_add_f64 v[0:1], v[0:1], v[108:109]
	;; [unrolled: 1-line block ×3, first 2 shown]
	v_add_f64 v[108:109], v[106:107], -v[118:119]
	v_add_f64 v[110:111], v[104:105], v[116:117]
	v_add_f64 v[104:105], v[104:105], -v[116:117]
	v_add_f64 v[106:107], v[106:107], v[118:119]
	v_add_f64 v[96:97], v[96:97], v[122:123]
	;; [unrolled: 1-line block ×4, first 2 shown]
	v_add_f64 v[114:115], v[114:115], -v[118:119]
	v_fma_f64 v[100:101], v[110:111], -0.5, v[100:101]
	v_add_f64 v[110:111], v[10:11], v[24:25]
	v_fma_f64 v[102:103], v[106:107], -0.5, v[102:103]
	v_add_f64 v[106:107], v[8:9], v[20:21]
	v_fma_f64 v[8:9], v[104:105], s[20:21], v[92:93]
	v_fma_f64 v[10:11], v[108:109], s[22:23], v[84:85]
	v_add_f64 v[112:113], v[112:113], -v[116:117]
	v_add_f64 v[116:117], v[0:1], v[116:117]
	v_add_f64 v[118:119], v[2:3], v[118:119]
	v_fma_f64 v[18:19], v[86:87], s[20:21], v[100:101]
	v_fma_f64 v[8:9], v[94:95], s[14:15], v[8:9]
	;; [unrolled: 1-line block ×3, first 2 shown]
	v_add_f64 v[0:1], v[28:29], v[116:117]
	v_add_f64 v[2:3], v[30:31], v[118:119]
	v_add_f64 v[6:7], v[30:31], -v[118:119]
	v_add_f64 v[30:31], v[98:99], v[114:115]
	v_add_f64 v[4:5], v[28:29], -v[116:117]
	v_add_f64 v[28:29], v[90:91], v[112:113]
	v_fma_f64 v[18:19], v[108:109], s[18:19], v[18:19]
	v_fma_f64 v[8:9], v[96:97], s[16:17], v[8:9]
	;; [unrolled: 1-line block ×4, first 2 shown]
	v_mul_f64 v[12:13], v[8:9], s[18:19]
	v_fma_f64 v[12:13], v[10:11], s[24:25], v[12:13]
	v_mul_f64 v[10:11], v[10:11], s[14:15]
	v_fma_f64 v[14:15], v[8:9], s[24:25], v[10:11]
	v_fma_f64 v[10:11], v[38:39], s[20:21], v[126:127]
	;; [unrolled: 1-line block ×7, first 2 shown]
	v_add_f64 v[10:11], v[24:25], v[14:15]
	v_add_f64 v[14:15], v[24:25], -v[14:15]
	v_add_f64 v[24:25], v[16:17], v[22:23]
	v_fma_f64 v[16:17], v[94:95], s[22:23], v[102:103]
	v_add_f64 v[8:9], v[20:21], v[12:13]
	v_add_f64 v[12:13], v[20:21], -v[12:13]
	v_fma_f64 v[16:17], v[104:105], s[14:15], v[16:17]
	v_fma_f64 v[16:17], v[30:31], s[16:17], v[16:17]
	v_mul_f64 v[20:21], v[16:17], s[22:23]
	v_mul_f64 v[16:17], v[16:17], s[16:17]
	v_fma_f64 v[20:21], v[18:19], s[16:17], v[20:21]
	v_fma_f64 v[22:23], v[18:19], s[20:21], v[16:17]
	v_fma_f64 v[16:17], v[32:33], s[20:21], v[80:81]
	v_fma_f64 v[80:81], v[32:33], s[22:23], v[80:81]
	v_fma_f64 v[18:19], v[34:35], s[22:23], v[82:83]
	v_fma_f64 v[16:17], v[36:37], s[18:19], v[16:17]
	v_fma_f64 v[80:81], v[36:37], s[14:15], v[80:81]
	v_fma_f64 v[18:19], v[38:39], s[14:15], v[18:19]
	v_fma_f64 v[36:37], v[36:37], s[20:21], v[124:125]
	v_fma_f64 v[90:91], v[24:25], s[16:17], v[16:17]
	v_fma_f64 v[80:81], v[24:25], s[16:17], v[80:81]
	v_fma_f64 v[24:25], v[34:35], s[20:21], v[82:83]
	v_fma_f64 v[98:99], v[26:27], s[16:17], v[18:19]
	v_fma_f64 v[32:33], v[32:33], s[14:15], v[36:37]
	v_add_f64 v[16:17], v[90:91], v[20:21]
	v_add_f64 v[20:21], v[90:91], -v[20:21]
	v_fma_f64 v[24:25], v[38:39], s[18:19], v[24:25]
	v_fma_f64 v[38:39], v[38:39], s[22:23], v[126:127]
	v_add_f64 v[18:19], v[98:99], v[22:23]
	v_add_f64 v[22:23], v[98:99], -v[22:23]
	v_fma_f64 v[82:83], v[26:27], s[16:17], v[24:25]
	v_fma_f64 v[24:25], v[94:95], s[20:21], v[102:103]
	;; [unrolled: 1-line block ×8, first 2 shown]
	v_mul_f64 v[28:29], v[24:25], s[22:23]
	v_mul_f64 v[24:25], v[24:25], s[26:27]
	v_fma_f64 v[28:29], v[26:27], s[26:27], v[28:29]
	v_fma_f64 v[30:31], v[26:27], s[20:21], v[24:25]
	v_add_f64 v[24:25], v[80:81], v[28:29]
	v_add_f64 v[28:29], v[80:81], -v[28:29]
	v_fma_f64 v[80:81], v[104:105], s[22:23], v[92:93]
	v_add_f64 v[26:27], v[82:83], v[30:31]
	v_add_f64 v[30:31], v[82:83], -v[30:31]
	v_fma_f64 v[82:83], v[108:109], s[20:21], v[84:85]
	v_fma_f64 v[80:81], v[94:95], s[18:19], v[80:81]
	;; [unrolled: 1-line block ×7, first 2 shown]
	v_mul_f64 v[34:35], v[38:39], s[18:19]
	v_mul_f64 v[36:37], v[38:39], s[28:29]
	v_fma_f64 v[38:39], v[32:33], s[28:29], v[34:35]
	v_fma_f64 v[84:85], v[32:33], s[14:15], v[36:37]
	v_add_f64 v[32:33], v[80:81], v[38:39]
	v_add_f64 v[34:35], v[82:83], v[84:85]
	v_add_f64 v[36:37], v[80:81], -v[38:39]
	v_add_f64 v[38:39], v[82:83], -v[84:85]
	ds_write_b128 v246, v[0:3]
	ds_write_b128 v246, v[8:11] offset:16
	ds_write_b128 v246, v[16:19] offset:32
	ds_write_b128 v246, v[24:27] offset:48
	ds_write_b128 v246, v[32:35] offset:64
	ds_write_b128 v246, v[4:7] offset:80
	ds_write_b128 v246, v[12:15] offset:96
	ds_write_b128 v246, v[20:23] offset:112
	ds_write_b128 v246, v[28:31] offset:128
	ds_write_b128 v246, v[36:39] offset:144
	v_add_f64 v[0:1], v[40:41], v[44:45]
	v_add_f64 v[2:3], v[42:43], v[46:47]
	v_add_f64 v[4:5], v[52:53], v[48:49]
	v_add_f64 v[8:9], v[44:45], -v[52:53]
	v_add_f64 v[16:17], v[52:53], -v[44:45]
	;; [unrolled: 1-line block ×4, first 2 shown]
	v_add_f64 v[6:7], v[54:55], v[50:51]
	v_add_f64 v[10:11], v[46:47], -v[54:55]
	v_add_f64 v[18:19], v[54:55], -v[46:47]
	v_add_f64 v[36:37], v[46:47], -v[58:59]
	v_add_f64 v[12:13], v[44:45], v[56:57]
	v_add_f64 v[38:39], v[44:45], -v[56:57]
	v_add_f64 v[14:15], v[46:47], v[58:59]
	v_add_f64 v[20:21], v[56:57], -v[48:49]
	v_add_f64 v[22:23], v[48:49], -v[56:57]
	;; [unrolled: 1-line block ×4, first 2 shown]
	v_add_f64 v[44:45], v[76:77], v[64:65]
	v_add_f64 v[46:47], v[78:79], -v[66:67]
	v_add_f64 v[80:81], v[68:69], -v[64:65]
	;; [unrolled: 1-line block ×3, first 2 shown]
	v_add_f64 v[0:1], v[0:1], v[52:53]
	v_add_f64 v[2:3], v[2:3], v[54:55]
	;; [unrolled: 1-line block ×3, first 2 shown]
	v_add_f64 v[54:55], v[76:77], -v[64:65]
	v_fma_f64 v[84:85], v[4:5], -0.5, v[40:41]
	v_fma_f64 v[86:87], v[6:7], -0.5, v[42:43]
	;; [unrolled: 1-line block ×4, first 2 shown]
	v_add_f64 v[26:27], v[18:19], v[26:27]
	v_fma_f64 v[44:45], v[44:45], -0.5, v[60:61]
	v_add_f64 v[0:1], v[0:1], v[48:49]
	v_add_f64 v[2:3], v[2:3], v[50:51]
	v_add_f64 v[48:49], v[72:73], -v[76:77]
	v_add_f64 v[50:51], v[76:77], -v[72:73]
	v_fma_f64 v[52:53], v[52:53], -0.5, v[62:63]
	v_add_f64 v[28:29], v[0:1], v[56:57]
	v_add_f64 v[0:1], v[60:61], v[72:73]
	;; [unrolled: 1-line block ×4, first 2 shown]
	v_add_f64 v[56:57], v[74:75], -v[78:79]
	v_add_f64 v[58:59], v[78:79], -v[74:75]
	v_add_f64 v[48:49], v[48:49], v[80:81]
	v_add_f64 v[0:1], v[0:1], v[76:77]
	v_add_f64 v[76:77], v[74:75], -v[70:71]
	v_add_f64 v[2:3], v[2:3], v[78:79]
	v_add_f64 v[78:79], v[72:73], v[68:69]
	;; [unrolled: 3-line block ×3, first 2 shown]
	v_add_f64 v[0:1], v[0:1], v[64:65]
	v_add_f64 v[64:65], v[64:65], -v[68:69]
	v_add_f64 v[2:3], v[2:3], v[66:67]
	v_add_f64 v[66:67], v[66:67], -v[70:71]
	v_fma_f64 v[60:61], v[78:79], -0.5, v[60:61]
	v_fma_f64 v[62:63], v[74:75], -0.5, v[62:63]
	v_add_f64 v[68:69], v[0:1], v[68:69]
	v_add_f64 v[70:71], v[2:3], v[70:71]
	v_fma_f64 v[18:19], v[46:47], s[20:21], v[60:61]
	v_add_f64 v[0:1], v[28:29], v[68:69]
	v_add_f64 v[4:5], v[28:29], -v[68:69]
	v_add_f64 v[68:69], v[8:9], v[20:21]
	v_fma_f64 v[8:9], v[72:73], s[20:21], v[52:53]
	v_add_f64 v[2:3], v[30:31], v[70:71]
	v_add_f64 v[6:7], v[30:31], -v[70:71]
	v_add_f64 v[70:71], v[10:11], v[24:25]
	v_fma_f64 v[10:11], v[76:77], s[22:23], v[44:45]
	v_add_f64 v[30:31], v[58:59], v[66:67]
	v_add_f64 v[28:29], v[50:51], v[64:65]
	v_fma_f64 v[18:19], v[76:77], s[18:19], v[18:19]
	v_fma_f64 v[8:9], v[54:55], s[14:15], v[8:9]
	;; [unrolled: 1-line block ×6, first 2 shown]
	v_mul_f64 v[12:13], v[8:9], s[18:19]
	v_fma_f64 v[12:13], v[10:11], s[24:25], v[12:13]
	v_mul_f64 v[10:11], v[10:11], s[14:15]
	v_fma_f64 v[14:15], v[8:9], s[24:25], v[10:11]
	v_fma_f64 v[10:11], v[38:39], s[20:21], v[86:87]
	;; [unrolled: 1-line block ×7, first 2 shown]
	v_add_f64 v[10:11], v[24:25], v[14:15]
	v_add_f64 v[14:15], v[24:25], -v[14:15]
	v_add_f64 v[24:25], v[16:17], v[22:23]
	v_fma_f64 v[16:17], v[54:55], s[22:23], v[62:63]
	v_add_f64 v[8:9], v[20:21], v[12:13]
	v_add_f64 v[12:13], v[20:21], -v[12:13]
	v_fma_f64 v[16:17], v[72:73], s[14:15], v[16:17]
	v_fma_f64 v[16:17], v[30:31], s[16:17], v[16:17]
	v_mul_f64 v[20:21], v[16:17], s[22:23]
	v_mul_f64 v[16:17], v[16:17], s[16:17]
	v_fma_f64 v[20:21], v[18:19], s[16:17], v[20:21]
	v_fma_f64 v[22:23], v[18:19], s[20:21], v[16:17]
	;; [unrolled: 1-line block ×14, first 2 shown]
	v_add_f64 v[16:17], v[50:51], v[20:21]
	v_add_f64 v[20:21], v[50:51], -v[20:21]
	v_fma_f64 v[24:25], v[38:39], s[18:19], v[24:25]
	v_fma_f64 v[38:39], v[38:39], s[22:23], v[86:87]
	v_add_f64 v[18:19], v[58:59], v[22:23]
	v_add_f64 v[22:23], v[58:59], -v[22:23]
	v_fma_f64 v[42:43], v[26:27], s[16:17], v[24:25]
	v_fma_f64 v[24:25], v[54:55], s[20:21], v[62:63]
	;; [unrolled: 1-line block ×8, first 2 shown]
	v_mul_f64 v[28:29], v[24:25], s[22:23]
	v_mul_f64 v[24:25], v[24:25], s[26:27]
	v_fma_f64 v[28:29], v[26:27], s[26:27], v[28:29]
	v_fma_f64 v[30:31], v[26:27], s[20:21], v[24:25]
	v_add_f64 v[24:25], v[40:41], v[28:29]
	v_add_f64 v[28:29], v[40:41], -v[28:29]
	v_fma_f64 v[40:41], v[72:73], s[22:23], v[52:53]
	v_add_f64 v[26:27], v[42:43], v[30:31]
	v_add_f64 v[30:31], v[42:43], -v[30:31]
	v_fma_f64 v[42:43], v[76:77], s[20:21], v[44:45]
	v_fma_f64 v[40:41], v[54:55], s[18:19], v[40:41]
	;; [unrolled: 1-line block ×7, first 2 shown]
	v_mul_f64 v[34:35], v[38:39], s[18:19]
	v_mul_f64 v[36:37], v[38:39], s[28:29]
	v_fma_f64 v[38:39], v[32:33], s[28:29], v[34:35]
	v_fma_f64 v[44:45], v[32:33], s[14:15], v[36:37]
	v_add_f64 v[32:33], v[40:41], v[38:39]
	v_add_f64 v[34:35], v[42:43], v[44:45]
	v_add_f64 v[36:37], v[40:41], -v[38:39]
	v_add_f64 v[38:39], v[42:43], -v[44:45]
	ds_write_b128 v245, v[0:3]
	ds_write_b128 v245, v[8:11] offset:16
	ds_write_b128 v245, v[16:19] offset:32
	;; [unrolled: 1-line block ×9, first 2 shown]
	s_waitcnt lgkmcnt(0)
	s_barrier
	buffer_gl0_inv
	ds_read_b128 v[0:3], v247 offset:10240
	s_clause 0x3
	buffer_load_dword v6, off, s[36:39], 0 offset:544
	buffer_load_dword v7, off, s[36:39], 0 offset:548
	buffer_load_dword v8, off, s[36:39], 0 offset:552
	buffer_load_dword v9, off, s[36:39], 0 offset:556
	s_waitcnt vmcnt(0) lgkmcnt(0)
	v_mul_f64 v[4:5], v[8:9], v[2:3]
	v_fma_f64 v[4:5], v[6:7], v[0:1], v[4:5]
	v_mul_f64 v[0:1], v[8:9], v[0:1]
	v_fma_f64 v[6:7], v[6:7], v[2:3], -v[0:1]
	ds_read_b128 v[0:3], v247 offset:20480
	s_clause 0x3
	buffer_load_dword v14, off, s[36:39], 0 offset:560
	buffer_load_dword v15, off, s[36:39], 0 offset:564
	buffer_load_dword v16, off, s[36:39], 0 offset:568
	buffer_load_dword v17, off, s[36:39], 0 offset:572
	s_waitcnt vmcnt(0) lgkmcnt(0)
	v_mul_f64 v[8:9], v[16:17], v[2:3]
	v_fma_f64 v[12:13], v[14:15], v[0:1], v[8:9]
	v_mul_f64 v[0:1], v[16:17], v[0:1]
	v_fma_f64 v[14:15], v[14:15], v[2:3], -v[0:1]
	;; [unrolled: 11-line block ×24, first 2 shown]
	ds_read_b128 v[0:3], v247 offset:59392
	s_clause 0x3
	buffer_load_dword v108, off, s[36:39], 0 offset:928
	buffer_load_dword v109, off, s[36:39], 0 offset:932
	;; [unrolled: 1-line block ×4, first 2 shown]
	s_waitcnt vmcnt(0) lgkmcnt(0)
	v_mul_f64 v[8:9], v[110:111], v[2:3]
	v_fma_f64 v[46:47], v[108:109], v[0:1], v[8:9]
	v_mul_f64 v[0:1], v[110:111], v[0:1]
	v_add_f64 v[8:9], v[12:13], v[20:21]
	v_fma_f64 v[44:45], v[108:109], v[2:3], -v[0:1]
	ds_read_b128 v[0:3], v247
	s_waitcnt lgkmcnt(0)
	v_fma_f64 v[108:109], v[8:9], -0.5, v[0:1]
	v_add_f64 v[8:9], v[14:15], v[22:23]
	v_add_f64 v[0:1], v[0:1], v[12:13]
	v_fma_f64 v[110:111], v[8:9], -0.5, v[2:3]
	v_add_f64 v[8:9], v[4:5], v[16:17]
	v_add_f64 v[0:1], v[0:1], v[20:21]
	;; [unrolled: 1-line block ×3, first 2 shown]
	v_add_f64 v[20:21], v[12:13], -v[20:21]
	v_add_f64 v[112:113], v[8:9], v[24:25]
	v_add_f64 v[8:9], v[6:7], v[18:19]
	;; [unrolled: 1-line block ×3, first 2 shown]
	v_add_f64 v[22:23], v[14:15], -v[22:23]
	v_add_f64 v[114:115], v[8:9], v[26:27]
	v_add_f64 v[8:9], v[0:1], v[112:113]
	v_add_f64 v[0:1], v[0:1], -v[112:113]
	v_add_f64 v[112:113], v[16:17], v[24:25]
	v_add_f64 v[16:17], v[16:17], -v[24:25]
	;; [unrolled: 2-line block ×4, first 2 shown]
	v_fma_f64 v[114:115], v[20:21], s[8:9], v[110:111]
	v_fma_f64 v[26:27], v[112:113], -0.5, v[4:5]
	v_fma_f64 v[24:25], v[24:25], -0.5, v[6:7]
	v_fma_f64 v[12:13], v[18:19], s[12:13], v[26:27]
	v_fma_f64 v[18:19], v[18:19], s[8:9], v[26:27]
	;; [unrolled: 1-line block ×5, first 2 shown]
	v_mul_f64 v[6:7], v[4:5], s[12:13]
	v_mul_f64 v[4:5], v[4:5], 0.5
	v_fma_f64 v[6:7], v[12:13], 0.5, v[6:7]
	v_fma_f64 v[112:113], v[12:13], s[8:9], v[4:5]
	v_fma_f64 v[4:5], v[22:23], s[12:13], v[108:109]
	v_fma_f64 v[108:109], v[20:21], s[12:13], v[110:111]
	v_mul_f64 v[20:21], v[16:17], s[12:13]
	v_mul_f64 v[16:17], v[16:17], -0.5
	v_add_f64 v[14:15], v[114:115], v[112:113]
	v_add_f64 v[12:13], v[4:5], v[6:7]
	v_add_f64 v[4:5], v[4:5], -v[6:7]
	v_fma_f64 v[26:27], v[18:19], -0.5, v[20:21]
	v_fma_f64 v[18:19], v[18:19], s[8:9], v[16:17]
	v_add_f64 v[6:7], v[114:115], -v[112:113]
	v_add_f64 v[20:21], v[24:25], v[26:27]
	v_add_f64 v[22:23], v[108:109], v[18:19]
	v_add_f64 v[16:17], v[24:25], -v[26:27]
	v_add_f64 v[18:19], v[108:109], -v[18:19]
	ds_read_b128 v[24:27], v247 offset:8192
	ds_read_b128 v[108:111], v247 offset:2048
	;; [unrolled: 1-line block ×4, first 2 shown]
	s_waitcnt lgkmcnt(0)
	s_barrier
	buffer_gl0_inv
	buffer_load_dword v120, off, s[36:39], 0 offset:960 ; 4-byte Folded Reload
	s_waitcnt vmcnt(0)
	ds_write_b128 v120, v[8:11]
	ds_write_b128 v120, v[0:3] offset:480
	ds_write_b128 v120, v[12:15] offset:160
	ds_write_b128 v120, v[20:23] offset:320
	ds_write_b128 v120, v[4:7] offset:640
	ds_write_b128 v120, v[16:19] offset:800
	v_add_f64 v[0:1], v[92:93], v[100:101]
	v_add_f64 v[2:3], v[110:111], v[94:95]
	v_add_f64 v[20:21], v[98:99], -v[106:107]
	v_fma_f64 v[16:17], v[0:1], -0.5, v[108:109]
	v_add_f64 v[0:1], v[94:95], v[102:103]
	v_add_f64 v[6:7], v[2:3], v[102:103]
	v_fma_f64 v[18:19], v[0:1], -0.5, v[110:111]
	v_add_f64 v[0:1], v[108:109], v[92:93]
	v_add_f64 v[92:93], v[92:93], -v[100:101]
	v_add_f64 v[4:5], v[0:1], v[100:101]
	v_add_f64 v[0:1], v[88:89], v[98:99]
	v_add_f64 v[8:9], v[0:1], v[106:107]
	v_add_f64 v[0:1], v[90:91], v[96:97]
	v_add_f64 v[10:11], v[0:1], v[104:105]
	v_add_f64 v[0:1], v[4:5], v[8:9]
	v_add_f64 v[4:5], v[4:5], -v[8:9]
	v_add_f64 v[8:9], v[98:99], v[106:107]
	v_fma_f64 v[98:99], v[92:93], s[8:9], v[18:19]
	v_add_f64 v[2:3], v[6:7], v[10:11]
	v_add_f64 v[6:7], v[6:7], -v[10:11]
	v_add_f64 v[10:11], v[96:97], v[104:105]
	v_fma_f64 v[88:89], v[8:9], -0.5, v[88:89]
	v_fma_f64 v[22:23], v[10:11], -0.5, v[90:91]
	v_add_f64 v[90:91], v[94:95], -v[102:103]
	v_add_f64 v[94:95], v[96:97], -v[104:105]
	v_fma_f64 v[8:9], v[20:21], s[8:9], v[22:23]
	v_fma_f64 v[20:21], v[20:21], s[12:13], v[22:23]
	v_fma_f64 v[12:13], v[94:95], s[12:13], v[88:89]
	v_fma_f64 v[22:23], v[90:91], s[8:9], v[16:17]
	v_mul_f64 v[10:11], v[8:9], s[12:13]
	v_mul_f64 v[8:9], v[8:9], 0.5
	v_fma_f64 v[14:15], v[12:13], 0.5, v[10:11]
	v_fma_f64 v[96:97], v[12:13], s[8:9], v[8:9]
	v_fma_f64 v[12:13], v[90:91], s[12:13], v[16:17]
	v_fma_f64 v[90:91], v[92:93], s[12:13], v[18:19]
	v_fma_f64 v[16:17], v[94:95], s[8:9], v[88:89]
	v_mul_f64 v[18:19], v[20:21], s[12:13]
	v_mul_f64 v[20:21], v[20:21], -0.5
	v_add_f64 v[10:11], v[98:99], v[96:97]
	v_add_f64 v[8:9], v[12:13], v[14:15]
	v_add_f64 v[12:13], v[12:13], -v[14:15]
	v_add_f64 v[14:15], v[98:99], -v[96:97]
	v_fma_f64 v[88:89], v[16:17], -0.5, v[18:19]
	v_fma_f64 v[92:93], v[16:17], s[8:9], v[20:21]
	v_add_f64 v[16:17], v[22:23], v[88:89]
	v_add_f64 v[20:21], v[22:23], -v[88:89]
	buffer_load_dword v88, off, s[36:39], 0 offset:956 ; 4-byte Folded Reload
	v_add_f64 v[18:19], v[90:91], v[92:93]
	v_add_f64 v[22:23], v[90:91], -v[92:93]
	s_waitcnt vmcnt(0)
	ds_write_b128 v88, v[0:3]
	ds_write_b128 v88, v[8:11] offset:160
	ds_write_b128 v88, v[16:19] offset:320
	ds_write_b128 v88, v[4:7] offset:480
	ds_write_b128 v88, v[12:15] offset:640
	ds_write_b128 v88, v[20:23] offset:800
	v_add_f64 v[0:1], v[72:73], v[80:81]
	v_add_f64 v[2:3], v[114:115], v[74:75]
	v_add_f64 v[20:21], v[78:79], -v[86:87]
	v_fma_f64 v[16:17], v[0:1], -0.5, v[112:113]
	v_add_f64 v[0:1], v[74:75], v[82:83]
	v_add_f64 v[6:7], v[2:3], v[82:83]
	v_fma_f64 v[18:19], v[0:1], -0.5, v[114:115]
	v_add_f64 v[0:1], v[112:113], v[72:73]
	v_add_f64 v[72:73], v[72:73], -v[80:81]
	v_add_f64 v[4:5], v[0:1], v[80:81]
	v_add_f64 v[0:1], v[68:69], v[78:79]
	v_add_f64 v[8:9], v[0:1], v[86:87]
	v_add_f64 v[0:1], v[70:71], v[76:77]
	v_add_f64 v[10:11], v[0:1], v[84:85]
	v_add_f64 v[0:1], v[4:5], v[8:9]
	v_add_f64 v[4:5], v[4:5], -v[8:9]
	v_add_f64 v[8:9], v[78:79], v[86:87]
	v_fma_f64 v[78:79], v[72:73], s[8:9], v[18:19]
	v_add_f64 v[2:3], v[6:7], v[10:11]
	v_add_f64 v[6:7], v[6:7], -v[10:11]
	v_add_f64 v[10:11], v[76:77], v[84:85]
	v_fma_f64 v[68:69], v[8:9], -0.5, v[68:69]
	v_fma_f64 v[22:23], v[10:11], -0.5, v[70:71]
	v_add_f64 v[70:71], v[74:75], -v[82:83]
	v_add_f64 v[74:75], v[76:77], -v[84:85]
	v_fma_f64 v[8:9], v[20:21], s[8:9], v[22:23]
	v_fma_f64 v[20:21], v[20:21], s[12:13], v[22:23]
	v_fma_f64 v[12:13], v[74:75], s[12:13], v[68:69]
	v_fma_f64 v[22:23], v[70:71], s[8:9], v[16:17]
	v_mul_f64 v[10:11], v[8:9], s[12:13]
	v_mul_f64 v[8:9], v[8:9], 0.5
	v_fma_f64 v[14:15], v[12:13], 0.5, v[10:11]
	v_fma_f64 v[76:77], v[12:13], s[8:9], v[8:9]
	v_fma_f64 v[12:13], v[70:71], s[12:13], v[16:17]
	v_fma_f64 v[70:71], v[72:73], s[12:13], v[18:19]
	v_fma_f64 v[16:17], v[74:75], s[8:9], v[68:69]
	v_mul_f64 v[18:19], v[20:21], s[12:13]
	v_mul_f64 v[20:21], v[20:21], -0.5
	v_add_f64 v[10:11], v[78:79], v[76:77]
	v_add_f64 v[8:9], v[12:13], v[14:15]
	v_add_f64 v[12:13], v[12:13], -v[14:15]
	v_add_f64 v[14:15], v[78:79], -v[76:77]
	v_fma_f64 v[68:69], v[16:17], -0.5, v[18:19]
	v_fma_f64 v[72:73], v[16:17], s[8:9], v[20:21]
	v_add_f64 v[16:17], v[22:23], v[68:69]
	v_add_f64 v[20:21], v[22:23], -v[68:69]
	buffer_load_dword v68, off, s[36:39], 0 offset:952 ; 4-byte Folded Reload
	v_add_f64 v[18:19], v[70:71], v[72:73]
	v_add_f64 v[22:23], v[70:71], -v[72:73]
	;; [unrolled: 56-line block ×3, first 2 shown]
	s_waitcnt vmcnt(0)
	ds_write_b128 v48, v[0:3]
	ds_write_b128 v48, v[8:11] offset:160
	ds_write_b128 v48, v[16:19] offset:320
	;; [unrolled: 1-line block ×5, first 2 shown]
	v_add_f64 v[0:1], v[32:33], v[40:41]
	v_add_f64 v[2:3], v[26:27], v[34:35]
	v_add_f64 v[20:21], v[38:39], -v[46:47]
	v_fma_f64 v[16:17], v[0:1], -0.5, v[24:25]
	v_add_f64 v[0:1], v[34:35], v[42:43]
	v_add_f64 v[6:7], v[2:3], v[42:43]
	v_fma_f64 v[18:19], v[0:1], -0.5, v[26:27]
	v_add_f64 v[0:1], v[24:25], v[32:33]
	v_add_f64 v[24:25], v[34:35], -v[42:43]
	v_add_f64 v[26:27], v[32:33], -v[40:41]
	v_add_f64 v[4:5], v[0:1], v[40:41]
	v_add_f64 v[0:1], v[28:29], v[38:39]
	v_fma_f64 v[34:35], v[26:27], s[8:9], v[18:19]
	v_add_f64 v[8:9], v[0:1], v[46:47]
	v_add_f64 v[0:1], v[30:31], v[36:37]
	;; [unrolled: 1-line block ×4, first 2 shown]
	v_add_f64 v[4:5], v[4:5], -v[8:9]
	v_add_f64 v[8:9], v[38:39], v[46:47]
	v_add_f64 v[2:3], v[6:7], v[10:11]
	v_add_f64 v[6:7], v[6:7], -v[10:11]
	v_add_f64 v[10:11], v[36:37], v[44:45]
	v_fma_f64 v[28:29], v[8:9], -0.5, v[28:29]
	v_fma_f64 v[22:23], v[10:11], -0.5, v[30:31]
	v_add_f64 v[30:31], v[36:37], -v[44:45]
	v_fma_f64 v[8:9], v[20:21], s[8:9], v[22:23]
	v_fma_f64 v[12:13], v[30:31], s[12:13], v[28:29]
	;; [unrolled: 1-line block ×4, first 2 shown]
	v_mul_f64 v[10:11], v[8:9], s[12:13]
	v_mul_f64 v[8:9], v[8:9], 0.5
	v_fma_f64 v[14:15], v[12:13], 0.5, v[10:11]
	v_fma_f64 v[32:33], v[12:13], s[8:9], v[8:9]
	v_fma_f64 v[12:13], v[24:25], s[12:13], v[16:17]
	;; [unrolled: 1-line block ×4, first 2 shown]
	v_mul_f64 v[18:19], v[20:21], s[12:13]
	v_mul_f64 v[20:21], v[20:21], -0.5
	v_add_f64 v[10:11], v[34:35], v[32:33]
	v_add_f64 v[8:9], v[12:13], v[14:15]
	v_add_f64 v[12:13], v[12:13], -v[14:15]
	v_add_f64 v[14:15], v[34:35], -v[32:33]
	v_fma_f64 v[26:27], v[16:17], -0.5, v[18:19]
	v_fma_f64 v[28:29], v[16:17], s[8:9], v[20:21]
	v_add_f64 v[16:17], v[22:23], v[26:27]
	v_add_f64 v[18:19], v[24:25], v[28:29]
	v_add_f64 v[20:21], v[22:23], -v[26:27]
	v_add_f64 v[22:23], v[24:25], -v[28:29]
	buffer_load_dword v24, off, s[36:39], 0 offset:944 ; 4-byte Folded Reload
	s_waitcnt vmcnt(0)
	ds_write_b128 v24, v[0:3]
	ds_write_b128 v24, v[8:11] offset:160
	ds_write_b128 v24, v[16:19] offset:320
	;; [unrolled: 1-line block ×5, first 2 shown]
	s_waitcnt lgkmcnt(0)
	s_barrier
	buffer_gl0_inv
	ds_read_b128 v[0:3], v247 offset:30720
	s_clause 0x3
	buffer_load_dword v6, off, s[36:39], 0 offset:964
	buffer_load_dword v7, off, s[36:39], 0 offset:968
	buffer_load_dword v8, off, s[36:39], 0 offset:972
	buffer_load_dword v9, off, s[36:39], 0 offset:976
	s_waitcnt vmcnt(0) lgkmcnt(0)
	v_mul_f64 v[4:5], v[8:9], v[2:3]
	v_fma_f64 v[4:5], v[6:7], v[0:1], v[4:5]
	v_mul_f64 v[0:1], v[8:9], v[0:1]
	v_fma_f64 v[6:7], v[6:7], v[2:3], -v[0:1]
	ds_read_b128 v[0:3], v247 offset:32768
	s_clause 0x3
	buffer_load_dword v10, off, s[36:39], 0 offset:980
	buffer_load_dword v11, off, s[36:39], 0 offset:984
	buffer_load_dword v12, off, s[36:39], 0 offset:988
	buffer_load_dword v13, off, s[36:39], 0 offset:992
	s_waitcnt vmcnt(0) lgkmcnt(0)
	v_mul_f64 v[8:9], v[12:13], v[2:3]
	v_fma_f64 v[64:65], v[10:11], v[0:1], v[8:9]
	v_mul_f64 v[0:1], v[12:13], v[0:1]
	v_fma_f64 v[66:67], v[10:11], v[2:3], -v[0:1]
	;; [unrolled: 11-line block ×15, first 2 shown]
	ds_read_b128 v[0:3], v247
	s_waitcnt lgkmcnt(0)
	v_add_f64 v[4:5], v[0:1], -v[4:5]
	v_add_f64 v[6:7], v[2:3], -v[6:7]
	v_fma_f64 v[8:9], v[0:1], 2.0, -v[4:5]
	v_fma_f64 v[10:11], v[2:3], 2.0, -v[6:7]
	ds_read_b128 v[0:3], v247 offset:2048
	ds_read_b128 v[68:71], v247 offset:28672
	;; [unrolled: 1-line block ×14, first 2 shown]
	s_waitcnt lgkmcnt(0)
	s_barrier
	buffer_gl0_inv
	buffer_load_dword v120, off, s[36:39], 0 offset:1252 ; 4-byte Folded Reload
	s_waitcnt vmcnt(0)
	ds_write_b128 v120, v[4:7] offset:960
	ds_write_b128 v120, v[8:11]
	buffer_load_dword v8, off, s[36:39], 0 offset:1260 ; 4-byte Folded Reload
	v_add_f64 v[4:5], v[0:1], -v[64:65]
	v_add_f64 v[6:7], v[2:3], -v[66:67]
	v_fma_f64 v[0:1], v[0:1], 2.0, -v[4:5]
	v_fma_f64 v[2:3], v[2:3], 2.0, -v[6:7]
	s_waitcnt vmcnt(0)
	ds_write_b128 v8, v[0:3]
	ds_write_b128 v8, v[4:7] offset:960
	buffer_load_dword v8, off, s[36:39], 0 offset:1256 ; 4-byte Folded Reload
	v_add_f64 v[0:1], v[72:73], -v[60:61]
	v_add_f64 v[2:3], v[74:75], -v[62:63]
	v_fma_f64 v[4:5], v[72:73], 2.0, -v[0:1]
	v_fma_f64 v[6:7], v[74:75], 2.0, -v[2:3]
	s_waitcnt vmcnt(0)
	ds_write_b128 v8, v[4:7]
	ds_write_b128 v8, v[0:3] offset:960
	;; [unrolled: 8-line block ×14, first 2 shown]
	s_waitcnt lgkmcnt(0)
	s_barrier
	buffer_gl0_inv
	ds_read_b128 v[0:3], v247 offset:30720
	s_clause 0x3
	buffer_load_dword v6, off, s[36:39], 0 offset:1264
	buffer_load_dword v7, off, s[36:39], 0 offset:1268
	buffer_load_dword v8, off, s[36:39], 0 offset:1272
	buffer_load_dword v9, off, s[36:39], 0 offset:1276
	s_waitcnt vmcnt(0) lgkmcnt(0)
	v_mul_f64 v[4:5], v[8:9], v[2:3]
	v_fma_f64 v[4:5], v[6:7], v[0:1], v[4:5]
	v_mul_f64 v[0:1], v[8:9], v[0:1]
	v_fma_f64 v[6:7], v[6:7], v[2:3], -v[0:1]
	ds_read_b128 v[0:3], v247 offset:32768
	s_clause 0x3
	buffer_load_dword v10, off, s[36:39], 0 offset:1280
	buffer_load_dword v11, off, s[36:39], 0 offset:1284
	buffer_load_dword v12, off, s[36:39], 0 offset:1288
	buffer_load_dword v13, off, s[36:39], 0 offset:1292
	s_waitcnt vmcnt(0) lgkmcnt(0)
	v_mul_f64 v[8:9], v[12:13], v[2:3]
	v_fma_f64 v[64:65], v[10:11], v[0:1], v[8:9]
	v_mul_f64 v[0:1], v[12:13], v[0:1]
	v_fma_f64 v[66:67], v[10:11], v[2:3], -v[0:1]
	;; [unrolled: 11-line block ×15, first 2 shown]
	ds_read_b128 v[0:3], v247
	s_waitcnt lgkmcnt(0)
	v_add_f64 v[4:5], v[0:1], -v[4:5]
	v_add_f64 v[6:7], v[2:3], -v[6:7]
	v_fma_f64 v[8:9], v[0:1], 2.0, -v[4:5]
	v_fma_f64 v[10:11], v[2:3], 2.0, -v[6:7]
	ds_read_b128 v[0:3], v247 offset:2048
	ds_read_b128 v[68:71], v247 offset:28672
	;; [unrolled: 1-line block ×14, first 2 shown]
	s_waitcnt lgkmcnt(0)
	s_barrier
	buffer_gl0_inv
	buffer_load_dword v120, off, s[36:39], 0 offset:1552 ; 4-byte Folded Reload
	s_waitcnt vmcnt(0)
	ds_write_b128 v120, v[4:7] offset:1920
	ds_write_b128 v120, v[8:11]
	buffer_load_dword v8, off, s[36:39], 0 offset:1560 ; 4-byte Folded Reload
	v_add_f64 v[4:5], v[0:1], -v[64:65]
	v_add_f64 v[6:7], v[2:3], -v[66:67]
	v_fma_f64 v[0:1], v[0:1], 2.0, -v[4:5]
	v_fma_f64 v[2:3], v[2:3], 2.0, -v[6:7]
	s_waitcnt vmcnt(0)
	ds_write_b128 v8, v[0:3]
	ds_write_b128 v8, v[4:7] offset:1920
	buffer_load_dword v8, off, s[36:39], 0 offset:1556 ; 4-byte Folded Reload
	v_add_f64 v[0:1], v[72:73], -v[60:61]
	v_add_f64 v[2:3], v[74:75], -v[62:63]
	v_fma_f64 v[4:5], v[72:73], 2.0, -v[0:1]
	v_fma_f64 v[6:7], v[74:75], 2.0, -v[2:3]
	s_waitcnt vmcnt(0)
	ds_write_b128 v8, v[4:7]
	ds_write_b128 v8, v[0:3] offset:1920
	;; [unrolled: 8-line block ×14, first 2 shown]
	s_waitcnt lgkmcnt(0)
	s_barrier
	buffer_gl0_inv
	ds_read_b128 v[0:3], v247 offset:30720
	s_clause 0x3
	buffer_load_dword v6, off, s[36:39], 0 offset:1564
	buffer_load_dword v7, off, s[36:39], 0 offset:1568
	buffer_load_dword v8, off, s[36:39], 0 offset:1572
	buffer_load_dword v9, off, s[36:39], 0 offset:1576
	s_waitcnt vmcnt(0) lgkmcnt(0)
	v_mul_f64 v[4:5], v[8:9], v[2:3]
	v_fma_f64 v[4:5], v[6:7], v[0:1], v[4:5]
	v_mul_f64 v[0:1], v[8:9], v[0:1]
	v_fma_f64 v[6:7], v[6:7], v[2:3], -v[0:1]
	ds_read_b128 v[0:3], v247 offset:32768
	s_clause 0x3
	buffer_load_dword v14, off, s[36:39], 0 offset:1580
	buffer_load_dword v15, off, s[36:39], 0 offset:1584
	buffer_load_dword v16, off, s[36:39], 0 offset:1588
	buffer_load_dword v17, off, s[36:39], 0 offset:1592
	s_waitcnt vmcnt(0) lgkmcnt(0)
	v_mul_f64 v[8:9], v[16:17], v[2:3]
	v_fma_f64 v[12:13], v[14:15], v[0:1], v[8:9]
	v_mul_f64 v[0:1], v[16:17], v[0:1]
	v_fma_f64 v[14:15], v[14:15], v[2:3], -v[0:1]
	;; [unrolled: 11-line block ×15, first 2 shown]
	ds_read_b128 v[0:3], v247
	s_waitcnt lgkmcnt(0)
	v_add_f64 v[8:9], v[0:1], -v[4:5]
	v_add_f64 v[10:11], v[2:3], -v[6:7]
	v_fma_f64 v[16:17], v[0:1], 2.0, -v[8:9]
	v_fma_f64 v[18:19], v[2:3], 2.0, -v[10:11]
	ds_read_b128 v[0:3], v247 offset:2048
	s_waitcnt lgkmcnt(0)
	v_add_f64 v[4:5], v[0:1], -v[12:13]
	v_add_f64 v[6:7], v[2:3], -v[14:15]
	v_fma_f64 v[12:13], v[0:1], 2.0, -v[4:5]
	v_fma_f64 v[14:15], v[2:3], 2.0, -v[6:7]
	ds_read_b128 v[0:3], v247 offset:4096
	ds_read_b128 v[72:75], v247 offset:28672
	;; [unrolled: 1-line block ×13, first 2 shown]
	s_waitcnt lgkmcnt(0)
	s_barrier
	buffer_gl0_inv
	ds_write_b128 v247, v[16:19]
	ds_write_b128 v247, v[8:11] offset:3840
	buffer_load_dword v8, off, s[36:39], 0 offset:1852 ; 4-byte Folded Reload
	s_waitcnt vmcnt(0)
	ds_write_b128 v8, v[12:15]
	ds_write_b128 v8, v[4:7] offset:3840
	v_add_f64 v[4:5], v[0:1], -v[64:65]
	v_add_f64 v[6:7], v[2:3], -v[66:67]
	;; [unrolled: 1-line block ×4, first 2 shown]
	v_fma_f64 v[0:1], v[0:1], 2.0, -v[4:5]
	v_fma_f64 v[2:3], v[2:3], 2.0, -v[6:7]
	ds_write_b128 v247, v[0:3] offset:7936
	ds_write_b128 v247, v[4:7] offset:11776
	buffer_load_dword v0, off, s[36:39], 0 offset:1848 ; 4-byte Folded Reload
	v_fma_f64 v[12:13], v[76:77], 2.0, -v[8:9]
	v_fma_f64 v[14:15], v[78:79], 2.0, -v[10:11]
	s_waitcnt vmcnt(0)
	ds_write_b128 v0, v[12:15]
	ds_write_b128 v0, v[8:11] offset:3840
	buffer_load_dword v8, off, s[36:39], 0 offset:1844 ; 4-byte Folded Reload
	v_add_f64 v[0:1], v[80:81], -v[60:61]
	v_add_f64 v[2:3], v[82:83], -v[62:63]
	v_fma_f64 v[4:5], v[80:81], 2.0, -v[0:1]
	v_fma_f64 v[6:7], v[82:83], 2.0, -v[2:3]
	s_waitcnt vmcnt(0)
	ds_write_b128 v8, v[4:7] offset:15360
	ds_write_b128 v8, v[0:3] offset:19200
	buffer_load_dword v8, off, s[36:39], 0 offset:1840 ; 4-byte Folded Reload
	v_add_f64 v[0:1], v[84:85], -v[56:57]
	v_add_f64 v[2:3], v[86:87], -v[58:59]
	v_fma_f64 v[4:5], v[84:85], 2.0, -v[0:1]
	v_fma_f64 v[6:7], v[86:87], 2.0, -v[2:3]
	s_waitcnt vmcnt(0)
	ds_write_b128 v8, v[4:7]
	ds_write_b128 v8, v[0:3] offset:3840
	buffer_load_dword v8, off, s[36:39], 0 offset:1836 ; 4-byte Folded Reload
	v_add_f64 v[0:1], v[88:89], -v[52:53]
	v_add_f64 v[2:3], v[90:91], -v[54:55]
	v_fma_f64 v[4:5], v[88:89], 2.0, -v[0:1]
	v_fma_f64 v[6:7], v[90:91], 2.0, -v[2:3]
	s_waitcnt vmcnt(0)
	ds_write_b128 v8, v[4:7] offset:23040
	ds_write_b128 v8, v[0:3] offset:26880
	buffer_load_dword v8, off, s[36:39], 0 offset:1832 ; 4-byte Folded Reload
	v_add_f64 v[0:1], v[92:93], -v[48:49]
	v_add_f64 v[2:3], v[94:95], -v[50:51]
	v_fma_f64 v[4:5], v[92:93], 2.0, -v[0:1]
	v_fma_f64 v[6:7], v[94:95], 2.0, -v[2:3]
	s_waitcnt vmcnt(0)
	ds_write_b128 v8, v[4:7]
	ds_write_b128 v8, v[0:3] offset:3840
	buffer_load_dword v8, off, s[36:39], 0 offset:1828 ; 4-byte Folded Reload
	v_add_f64 v[0:1], v[96:97], -v[44:45]
	v_add_f64 v[2:3], v[98:99], -v[46:47]
	v_fma_f64 v[4:5], v[96:97], 2.0, -v[0:1]
	v_fma_f64 v[6:7], v[98:99], 2.0, -v[2:3]
	s_waitcnt vmcnt(0)
	ds_write_b128 v8, v[4:7] offset:30720
	ds_write_b128 v8, v[0:3] offset:34560
	buffer_load_dword v8, off, s[36:39], 0 offset:1824 ; 4-byte Folded Reload
	v_add_f64 v[0:1], v[100:101], -v[40:41]
	v_add_f64 v[2:3], v[102:103], -v[42:43]
	v_fma_f64 v[4:5], v[100:101], 2.0, -v[0:1]
	v_fma_f64 v[6:7], v[102:103], 2.0, -v[2:3]
	s_waitcnt vmcnt(0)
	ds_write_b128 v8, v[4:7]
	ds_write_b128 v8, v[0:3] offset:3840
	buffer_load_dword v8, off, s[36:39], 0 offset:1820 ; 4-byte Folded Reload
	v_add_f64 v[0:1], v[104:105], -v[36:37]
	v_add_f64 v[2:3], v[106:107], -v[38:39]
	v_fma_f64 v[4:5], v[104:105], 2.0, -v[0:1]
	v_fma_f64 v[6:7], v[106:107], 2.0, -v[2:3]
	s_waitcnt vmcnt(0)
	ds_write_b128 v8, v[4:7] offset:38400
	ds_write_b128 v8, v[0:3] offset:42240
	buffer_load_dword v8, off, s[36:39], 0 offset:1816 ; 4-byte Folded Reload
	v_add_f64 v[0:1], v[108:109], -v[32:33]
	v_add_f64 v[2:3], v[110:111], -v[34:35]
	v_fma_f64 v[4:5], v[108:109], 2.0, -v[0:1]
	v_fma_f64 v[6:7], v[110:111], 2.0, -v[2:3]
	s_waitcnt vmcnt(0)
	ds_write_b128 v8, v[4:7]
	ds_write_b128 v8, v[0:3] offset:3840
	buffer_load_dword v8, off, s[36:39], 0 offset:1812 ; 4-byte Folded Reload
	v_add_f64 v[0:1], v[112:113], -v[28:29]
	v_add_f64 v[2:3], v[114:115], -v[30:31]
	v_fma_f64 v[4:5], v[112:113], 2.0, -v[0:1]
	v_fma_f64 v[6:7], v[114:115], 2.0, -v[2:3]
	s_waitcnt vmcnt(0)
	ds_write_b128 v8, v[4:7] offset:46080
	ds_write_b128 v8, v[0:3] offset:49920
	buffer_load_dword v8, off, s[36:39], 0 offset:1808 ; 4-byte Folded Reload
	v_add_f64 v[0:1], v[116:117], -v[24:25]
	v_add_f64 v[2:3], v[118:119], -v[26:27]
	v_fma_f64 v[4:5], v[116:117], 2.0, -v[0:1]
	v_fma_f64 v[6:7], v[118:119], 2.0, -v[2:3]
	s_waitcnt vmcnt(0)
	ds_write_b128 v8, v[4:7]
	ds_write_b128 v8, v[0:3] offset:3840
	buffer_load_dword v8, off, s[36:39], 0 offset:1804 ; 4-byte Folded Reload
	v_add_f64 v[0:1], v[72:73], -v[20:21]
	v_add_f64 v[2:3], v[74:75], -v[22:23]
	v_fma_f64 v[4:5], v[72:73], 2.0, -v[0:1]
	v_fma_f64 v[6:7], v[74:75], 2.0, -v[2:3]
	s_waitcnt vmcnt(0)
	ds_write_b128 v8, v[4:7] offset:53760
	ds_write_b128 v8, v[0:3] offset:57600
	s_waitcnt lgkmcnt(0)
	s_barrier
	buffer_gl0_inv
	ds_read_b128 v[0:3], v247 offset:30720
	s_clause 0x3
	buffer_load_dword v6, off, s[36:39], 0 offset:1856
	buffer_load_dword v7, off, s[36:39], 0 offset:1860
	buffer_load_dword v8, off, s[36:39], 0 offset:1864
	buffer_load_dword v9, off, s[36:39], 0 offset:1868
	s_waitcnt vmcnt(0) lgkmcnt(0)
	v_mul_f64 v[4:5], v[8:9], v[2:3]
	v_fma_f64 v[4:5], v[6:7], v[0:1], v[4:5]
	v_mul_f64 v[0:1], v[8:9], v[0:1]
	v_fma_f64 v[6:7], v[6:7], v[2:3], -v[0:1]
	ds_read_b128 v[0:3], v247 offset:32768
	s_clause 0x3
	buffer_load_dword v10, off, s[36:39], 0 offset:1872
	buffer_load_dword v11, off, s[36:39], 0 offset:1876
	buffer_load_dword v12, off, s[36:39], 0 offset:1880
	buffer_load_dword v13, off, s[36:39], 0 offset:1884
	s_waitcnt vmcnt(0) lgkmcnt(0)
	v_mul_f64 v[8:9], v[12:13], v[2:3]
	v_fma_f64 v[8:9], v[10:11], v[0:1], v[8:9]
	v_mul_f64 v[0:1], v[12:13], v[0:1]
	v_fma_f64 v[10:11], v[10:11], v[2:3], -v[0:1]
	;; [unrolled: 11-line block ×15, first 2 shown]
	ds_read_b128 v[0:3], v247
	s_waitcnt lgkmcnt(0)
	v_add_f64 v[20:21], v[0:1], -v[4:5]
	v_add_f64 v[22:23], v[2:3], -v[6:7]
	v_fma_f64 v[28:29], v[0:1], 2.0, -v[20:21]
	v_fma_f64 v[30:31], v[2:3], 2.0, -v[22:23]
	ds_read_b128 v[0:3], v247 offset:2048
	s_waitcnt lgkmcnt(0)
	v_add_f64 v[12:13], v[0:1], -v[8:9]
	v_add_f64 v[14:15], v[2:3], -v[10:11]
	ds_read_b128 v[8:11], v247 offset:6144
	v_fma_f64 v[24:25], v[0:1], 2.0, -v[12:13]
	v_fma_f64 v[26:27], v[2:3], 2.0, -v[14:15]
	ds_read_b128 v[0:3], v247 offset:4096
	s_waitcnt lgkmcnt(0)
	v_add_f64 v[4:5], v[0:1], -v[16:17]
	v_add_f64 v[6:7], v[2:3], -v[18:19]
	v_fma_f64 v[16:17], v[0:1], 2.0, -v[4:5]
	v_fma_f64 v[18:19], v[2:3], 2.0, -v[6:7]
	v_add_f64 v[0:1], v[8:9], -v[76:77]
	v_add_f64 v[2:3], v[10:11], -v[78:79]
	ds_read_b128 v[76:79], v247 offset:28672
	ds_read_b128 v[80:83], v247 offset:8192
	;; [unrolled: 1-line block ×11, first 2 shown]
	s_waitcnt lgkmcnt(0)
	s_barrier
	buffer_gl0_inv
	ds_write_b128 v247, v[28:31]
	ds_write_b128 v247, v[20:23] offset:7680
	ds_write_b128 v247, v[24:27] offset:2048
	;; [unrolled: 1-line block ×5, first 2 shown]
	buffer_load_dword v4, off, s[36:39], 0 offset:2128 ; 4-byte Folded Reload
	v_add_f64 v[16:17], v[88:89], -v[68:69]
	v_add_f64 v[18:19], v[90:91], -v[70:71]
	;; [unrolled: 1-line block ×3, first 2 shown]
	v_fma_f64 v[8:9], v[8:9], 2.0, -v[0:1]
	v_fma_f64 v[10:11], v[10:11], 2.0, -v[2:3]
	s_waitcnt vmcnt(0)
	ds_write_b128 v4, v[8:11]
	ds_write_b128 v4, v[0:3] offset:7680
	v_add_f64 v[0:1], v[80:81], -v[60:61]
	v_add_f64 v[2:3], v[82:83], -v[62:63]
	;; [unrolled: 1-line block ×4, first 2 shown]
	v_fma_f64 v[20:21], v[88:89], 2.0, -v[16:17]
	v_fma_f64 v[22:23], v[90:91], 2.0, -v[18:19]
	v_add_f64 v[26:27], v[94:95], -v[74:75]
	v_fma_f64 v[28:29], v[92:93], 2.0, -v[24:25]
	v_fma_f64 v[4:5], v[80:81], 2.0, -v[0:1]
	;; [unrolled: 1-line block ×5, first 2 shown]
	ds_write_b128 v247, v[4:7] offset:15872
	ds_write_b128 v247, v[0:3] offset:23552
	;; [unrolled: 1-line block ×6, first 2 shown]
	buffer_load_dword v0, off, s[36:39], 0 offset:2124 ; 4-byte Folded Reload
	v_fma_f64 v[30:31], v[94:95], 2.0, -v[26:27]
	s_waitcnt vmcnt(0)
	ds_write_b128 v0, v[28:31]
	ds_write_b128 v0, v[24:27] offset:7680
	buffer_load_dword v8, off, s[36:39], 0 offset:2120 ; 4-byte Folded Reload
	v_add_f64 v[0:1], v[96:97], -v[56:57]
	v_add_f64 v[2:3], v[98:99], -v[58:59]
	v_fma_f64 v[4:5], v[96:97], 2.0, -v[0:1]
	v_fma_f64 v[6:7], v[98:99], 2.0, -v[2:3]
	s_waitcnt vmcnt(0)
	ds_write_b128 v8, v[4:7] offset:30720
	ds_write_b128 v8, v[0:3] offset:38400
	buffer_load_dword v8, off, s[36:39], 0 offset:2116 ; 4-byte Folded Reload
	v_add_f64 v[0:1], v[100:101], -v[52:53]
	v_add_f64 v[2:3], v[102:103], -v[54:55]
	v_fma_f64 v[4:5], v[100:101], 2.0, -v[0:1]
	v_fma_f64 v[6:7], v[102:103], 2.0, -v[2:3]
	s_waitcnt vmcnt(0)
	ds_write_b128 v8, v[4:7] offset:30720
	;; [unrolled: 8-line block ×3, first 2 shown]
	ds_write_b128 v8, v[0:3] offset:38400
	buffer_load_dword v8, off, s[36:39], 0 offset:2108 ; 4-byte Folded Reload
	v_add_f64 v[0:1], v[108:109], -v[44:45]
	v_add_f64 v[2:3], v[110:111], -v[46:47]
	v_fma_f64 v[4:5], v[108:109], 2.0, -v[0:1]
	v_fma_f64 v[6:7], v[110:111], 2.0, -v[2:3]
	s_waitcnt vmcnt(0)
	ds_write_b128 v8, v[4:7]
	ds_write_b128 v8, v[0:3] offset:7680
	buffer_load_dword v8, off, s[36:39], 0 offset:2104 ; 4-byte Folded Reload
	v_add_f64 v[0:1], v[112:113], -v[40:41]
	v_add_f64 v[2:3], v[114:115], -v[42:43]
	v_fma_f64 v[4:5], v[112:113], 2.0, -v[0:1]
	v_fma_f64 v[6:7], v[114:115], 2.0, -v[2:3]
	s_waitcnt vmcnt(0)
	ds_write_b128 v8, v[4:7] offset:46080
	ds_write_b128 v8, v[0:3] offset:53760
	buffer_load_dword v8, off, s[36:39], 0 offset:2100 ; 4-byte Folded Reload
	v_add_f64 v[0:1], v[116:117], -v[36:37]
	v_add_f64 v[2:3], v[118:119], -v[38:39]
	v_fma_f64 v[4:5], v[116:117], 2.0, -v[0:1]
	v_fma_f64 v[6:7], v[118:119], 2.0, -v[2:3]
	s_waitcnt vmcnt(0)
	ds_write_b128 v8, v[4:7] offset:46080
	;; [unrolled: 8-line block ×3, first 2 shown]
	ds_write_b128 v8, v[0:3] offset:53760
	s_waitcnt lgkmcnt(0)
	s_barrier
	buffer_gl0_inv
	ds_read_b128 v[0:3], v247 offset:30720
	s_clause 0x3
	buffer_load_dword v6, off, s[36:39], 0 offset:2132
	buffer_load_dword v7, off, s[36:39], 0 offset:2136
	buffer_load_dword v8, off, s[36:39], 0 offset:2140
	buffer_load_dword v9, off, s[36:39], 0 offset:2144
	s_waitcnt vmcnt(0) lgkmcnt(0)
	v_mul_f64 v[4:5], v[8:9], v[2:3]
	v_fma_f64 v[4:5], v[6:7], v[0:1], v[4:5]
	v_mul_f64 v[0:1], v[8:9], v[0:1]
	v_fma_f64 v[6:7], v[6:7], v[2:3], -v[0:1]
	ds_read_b128 v[0:3], v247 offset:32768
	s_clause 0x3
	buffer_load_dword v10, off, s[36:39], 0 offset:2148
	buffer_load_dword v11, off, s[36:39], 0 offset:2152
	buffer_load_dword v12, off, s[36:39], 0 offset:2156
	buffer_load_dword v13, off, s[36:39], 0 offset:2160
	s_waitcnt vmcnt(0) lgkmcnt(0)
	v_mul_f64 v[8:9], v[12:13], v[2:3]
	v_fma_f64 v[8:9], v[10:11], v[0:1], v[8:9]
	v_mul_f64 v[0:1], v[12:13], v[0:1]
	v_fma_f64 v[10:11], v[10:11], v[2:3], -v[0:1]
	;; [unrolled: 11-line block ×3, first 2 shown]
	ds_read_b128 v[0:3], v247 offset:36864
	s_clause 0x3
	buffer_load_dword v18, off, s[36:39], 0 offset:2180
	buffer_load_dword v19, off, s[36:39], 0 offset:2184
	;; [unrolled: 1-line block ×4, first 2 shown]
	ds_read_b128 v[32:35], v247 offset:10240
	ds_read_b128 v[44:47], v247 offset:12288
	;; [unrolled: 1-line block ×3, first 2 shown]
	s_waitcnt vmcnt(0) lgkmcnt(3)
	v_mul_f64 v[16:17], v[20:21], v[2:3]
	v_fma_f64 v[16:17], v[18:19], v[0:1], v[16:17]
	v_mul_f64 v[0:1], v[20:21], v[0:1]
	v_fma_f64 v[18:19], v[18:19], v[2:3], -v[0:1]
	ds_read_b128 v[0:3], v247 offset:38912
	s_waitcnt lgkmcnt(0)
	v_mul_f64 v[20:21], v[243:244], v[2:3]
	v_fma_f64 v[20:21], v[241:242], v[0:1], v[20:21]
	v_mul_f64 v[0:1], v[243:244], v[0:1]
	v_fma_f64 v[22:23], v[241:242], v[2:3], -v[0:1]
	ds_read_b128 v[0:3], v247 offset:40960
	s_waitcnt lgkmcnt(0)
	;; [unrolled: 6-line block ×11, first 2 shown]
	v_mul_f64 v[24:25], v[159:160], v[2:3]
	v_fma_f64 v[88:89], v[157:158], v[0:1], v[24:25]
	v_mul_f64 v[0:1], v[159:160], v[0:1]
	v_fma_f64 v[90:91], v[157:158], v[2:3], -v[0:1]
	ds_read_b128 v[0:3], v247
	s_waitcnt lgkmcnt(0)
	v_add_f64 v[40:41], v[0:1], -v[4:5]
	v_add_f64 v[42:43], v[2:3], -v[6:7]
	v_fma_f64 v[60:61], v[0:1], 2.0, -v[40:41]
	v_fma_f64 v[62:63], v[2:3], 2.0, -v[42:43]
	ds_read_b128 v[0:3], v247 offset:2048
	s_waitcnt lgkmcnt(0)
	v_add_f64 v[24:25], v[0:1], -v[8:9]
	v_add_f64 v[26:27], v[2:3], -v[10:11]
	ds_read_b128 v[8:11], v247 offset:6144
	v_fma_f64 v[52:53], v[0:1], 2.0, -v[24:25]
	v_fma_f64 v[54:55], v[2:3], 2.0, -v[26:27]
	ds_read_b128 v[0:3], v247 offset:4096
	s_waitcnt lgkmcnt(0)
	v_add_f64 v[4:5], v[0:1], -v[12:13]
	v_add_f64 v[6:7], v[2:3], -v[14:15]
	v_fma_f64 v[28:29], v[0:1], 2.0, -v[4:5]
	v_fma_f64 v[30:31], v[2:3], 2.0, -v[6:7]
	v_add_f64 v[0:1], v[8:9], -v[16:17]
	v_add_f64 v[2:3], v[10:11], -v[18:19]
	ds_read_b128 v[16:19], v247 offset:8192
	v_fma_f64 v[12:13], v[8:9], 2.0, -v[0:1]
	v_fma_f64 v[14:15], v[10:11], 2.0, -v[2:3]
	s_waitcnt lgkmcnt(0)
	v_add_f64 v[8:9], v[16:17], -v[20:21]
	v_add_f64 v[10:11], v[18:19], -v[22:23]
	v_fma_f64 v[20:21], v[16:17], 2.0, -v[8:9]
	v_fma_f64 v[22:23], v[18:19], 2.0, -v[10:11]
	v_add_f64 v[16:17], v[32:33], -v[36:37]
	v_add_f64 v[18:19], v[34:35], -v[38:39]
	v_fma_f64 v[36:37], v[32:33], 2.0, -v[16:17]
	v_fma_f64 v[38:39], v[34:35], 2.0, -v[18:19]
	;; [unrolled: 4-line block ×3, first 2 shown]
	v_add_f64 v[44:45], v[56:57], -v[92:93]
	v_add_f64 v[46:47], v[58:59], -v[94:95]
	ds_read_b128 v[92:95], v247 offset:28672
	ds_read_b128 v[96:99], v247 offset:16384
	;; [unrolled: 1-line block ×7, first 2 shown]
	s_waitcnt lgkmcnt(0)
	s_barrier
	buffer_gl0_inv
	ds_write_b128 v247, v[60:63]
	ds_write_b128 v247, v[40:43] offset:15360
	ds_write_b128 v247, v[52:55] offset:2048
	;; [unrolled: 1-line block ×13, first 2 shown]
	buffer_load_dword v0, off, s[36:39], 0 offset:2212 ; 4-byte Folded Reload
	v_add_f64 v[48:49], v[92:93], -v[88:89]
	v_add_f64 v[2:3], v[98:99], -v[66:67]
	;; [unrolled: 1-line block ×6, first 2 shown]
	v_fma_f64 v[56:57], v[56:57], 2.0, -v[44:45]
	v_fma_f64 v[58:59], v[58:59], 2.0, -v[46:47]
	s_waitcnt vmcnt(0)
	ds_write_b128 v0, v[56:59]
	ds_write_b128 v0, v[44:47] offset:15360
	v_add_f64 v[0:1], v[96:97], -v[64:65]
	v_add_f64 v[24:25], v[108:109], -v[76:77]
	;; [unrolled: 1-line block ×8, first 2 shown]
	v_fma_f64 v[6:7], v[98:99], 2.0, -v[2:3]
	v_fma_f64 v[12:13], v[100:101], 2.0, -v[8:9]
	;; [unrolled: 1-line block ×14, first 2 shown]
	ds_write_b128 v247, v[4:7] offset:31744
	ds_write_b128 v247, v[0:3] offset:47104
	;; [unrolled: 1-line block ×14, first 2 shown]
	s_waitcnt lgkmcnt(0)
	s_barrier
	buffer_gl0_inv
	ds_read_b128 v[0:3], v247 offset:30720
	s_waitcnt lgkmcnt(0)
	v_mul_f64 v[4:5], v[151:152], v[2:3]
	v_fma_f64 v[4:5], v[149:150], v[0:1], v[4:5]
	v_mul_f64 v[0:1], v[151:152], v[0:1]
	v_fma_f64 v[6:7], v[149:150], v[2:3], -v[0:1]
	ds_read_b128 v[0:3], v247 offset:32768
	s_waitcnt lgkmcnt(0)
	v_mul_f64 v[8:9], v[195:196], v[2:3]
	v_fma_f64 v[8:9], v[193:194], v[0:1], v[8:9]
	v_mul_f64 v[0:1], v[195:196], v[0:1]
	v_fma_f64 v[10:11], v[193:194], v[2:3], -v[0:1]
	;; [unrolled: 6-line block ×12, first 2 shown]
	ds_read_b128 v[0:3], v247 offset:55296
	s_clause 0x3
	buffer_load_dword v46, off, s[36:39], 0 offset:2196
	buffer_load_dword v47, off, s[36:39], 0 offset:2200
	;; [unrolled: 1-line block ×4, first 2 shown]
	s_waitcnt vmcnt(0) lgkmcnt(0)
	v_mul_f64 v[44:45], v[48:49], v[2:3]
	v_fma_f64 v[124:125], v[46:47], v[0:1], v[44:45]
	v_mul_f64 v[0:1], v[48:49], v[0:1]
	v_fma_f64 v[126:127], v[46:47], v[2:3], -v[0:1]
	ds_read_b128 v[0:3], v247 offset:57344
	s_waitcnt lgkmcnt(0)
	v_mul_f64 v[44:45], v[155:156], v[2:3]
	v_fma_f64 v[128:129], v[153:154], v[0:1], v[44:45]
	v_mul_f64 v[0:1], v[155:156], v[0:1]
	v_fma_f64 v[130:131], v[153:154], v[2:3], -v[0:1]
	ds_read_b128 v[0:3], v247 offset:59392
	s_waitcnt lgkmcnt(0)
	v_mul_f64 v[44:45], v[146:147], v[2:3]
	v_fma_f64 v[112:113], v[144:145], v[0:1], v[44:45]
	v_mul_f64 v[0:1], v[146:147], v[0:1]
	v_fma_f64 v[114:115], v[144:145], v[2:3], -v[0:1]
	ds_read_b128 v[0:3], v247
	s_waitcnt lgkmcnt(0)
	v_add_f64 v[100:101], v[0:1], -v[4:5]
	v_add_f64 v[102:103], v[2:3], -v[6:7]
	v_fma_f64 v[108:109], v[0:1], 2.0, -v[100:101]
	v_fma_f64 v[110:111], v[2:3], 2.0, -v[102:103]
	ds_read_b128 v[0:3], v247 offset:2048
	s_waitcnt lgkmcnt(0)
	v_add_f64 v[92:93], v[0:1], -v[8:9]
	v_add_f64 v[94:95], v[2:3], -v[10:11]
	ds_read_b128 v[8:11], v247 offset:26624
	v_fma_f64 v[104:105], v[0:1], 2.0, -v[92:93]
	v_fma_f64 v[106:107], v[2:3], 2.0, -v[94:95]
	ds_read_b128 v[0:3], v247 offset:4096
	s_waitcnt lgkmcnt(0)
	v_add_f64 v[84:85], v[0:1], -v[12:13]
	v_add_f64 v[86:87], v[2:3], -v[14:15]
	v_fma_f64 v[96:97], v[0:1], 2.0, -v[84:85]
	v_fma_f64 v[98:99], v[2:3], 2.0, -v[86:87]
	ds_read_b128 v[0:3], v247 offset:6144
	s_waitcnt lgkmcnt(0)
	v_add_f64 v[76:77], v[0:1], -v[16:17]
	v_add_f64 v[78:79], v[2:3], -v[18:19]
	;; [unrolled: 6-line block ×9, first 2 shown]
	ds_read_b128 v[116:119], v247 offset:28672
	v_fma_f64 v[32:33], v[0:1], 2.0, -v[20:21]
	v_fma_f64 v[34:35], v[2:3], 2.0, -v[22:23]
	ds_read_b128 v[0:3], v247 offset:22528
	s_waitcnt lgkmcnt(1)
	v_add_f64 v[112:113], v[116:117], -v[112:113]
	v_add_f64 v[114:115], v[118:119], -v[114:115]
	s_waitcnt lgkmcnt(0)
	v_add_f64 v[12:13], v[0:1], -v[120:121]
	v_add_f64 v[14:15], v[2:3], -v[122:123]
	v_fma_f64 v[116:117], v[116:117], 2.0, -v[112:113]
	v_fma_f64 v[118:119], v[118:119], 2.0, -v[114:115]
	;; [unrolled: 1-line block ×4, first 2 shown]
	ds_read_b128 v[0:3], v247 offset:24576
	s_waitcnt lgkmcnt(0)
	v_add_f64 v[4:5], v[0:1], -v[124:125]
	v_add_f64 v[6:7], v[2:3], -v[126:127]
	v_fma_f64 v[16:17], v[0:1], 2.0, -v[4:5]
	v_add_f64 v[0:1], v[8:9], -v[128:129]
	v_fma_f64 v[18:19], v[2:3], 2.0, -v[6:7]
	;; [unrolled: 2-line block ×3, first 2 shown]
	v_fma_f64 v[10:11], v[10:11], 2.0, -v[2:3]
	ds_write_b128 v247, v[108:111]
	ds_write_b128 v247, v[100:103] offset:30720
	ds_write_b128 v247, v[104:107] offset:2048
	;; [unrolled: 1-line block ×29, first 2 shown]
	s_waitcnt lgkmcnt(0)
	s_barrier
	buffer_gl0_inv
	ds_read_b128 v[2:5], v247
	s_clause 0x3
	buffer_load_dword v6, off, s[36:39], 0 offset:464
	buffer_load_dword v7, off, s[36:39], 0 offset:468
	buffer_load_dword v8, off, s[36:39], 0 offset:472
	buffer_load_dword v9, off, s[36:39], 0 offset:476
	s_waitcnt vmcnt(0) lgkmcnt(0)
	v_mul_f64 v[0:1], v[8:9], v[4:5]
	v_fma_f64 v[0:1], v[6:7], v[2:3], v[0:1]
	v_mul_f64 v[2:3], v[8:9], v[2:3]
	v_fma_f64 v[2:3], v[6:7], v[4:5], -v[2:3]
	ds_read_b128 v[4:7], v247 offset:6144
	s_clause 0x3
	buffer_load_dword v10, off, s[36:39], 0 offset:256
	buffer_load_dword v11, off, s[36:39], 0 offset:260
	buffer_load_dword v12, off, s[36:39], 0 offset:264
	buffer_load_dword v13, off, s[36:39], 0 offset:268
	s_waitcnt vmcnt(0) lgkmcnt(0)
	v_mul_f64 v[8:9], v[12:13], v[6:7]
	v_fma_f64 v[8:9], v[10:11], v[4:5], v[8:9]
	v_mul_f64 v[4:5], v[12:13], v[4:5]
	v_fma_f64 v[10:11], v[10:11], v[6:7], -v[4:5]
	ds_read_b128 v[4:7], v247 offset:12288
	;; [unrolled: 11-line block ×10, first 2 shown]
	s_clause 0x3
	buffer_load_dword v46, off, s[36:39], 0
	buffer_load_dword v47, off, s[36:39], 0 offset:4
	buffer_load_dword v48, off, s[36:39], 0 offset:8
	buffer_load_dword v49, off, s[36:39], 0 offset:12
	s_waitcnt vmcnt(0) lgkmcnt(0)
	v_mul_f64 v[44:45], v[48:49], v[6:7]
	v_fma_f64 v[44:45], v[46:47], v[4:5], v[44:45]
	v_mul_f64 v[4:5], v[48:49], v[4:5]
	v_fma_f64 v[46:47], v[46:47], v[6:7], -v[4:5]
	ds_read_b128 v[4:7], v247 offset:8192
	s_clause 0x3
	buffer_load_dword v50, off, s[36:39], 0 offset:352
	buffer_load_dword v51, off, s[36:39], 0 offset:356
	buffer_load_dword v52, off, s[36:39], 0 offset:360
	buffer_load_dword v53, off, s[36:39], 0 offset:364
	s_waitcnt vmcnt(0) lgkmcnt(0)
	v_mul_f64 v[48:49], v[52:53], v[6:7]
	v_fma_f64 v[48:49], v[50:51], v[4:5], v[48:49]
	v_mul_f64 v[4:5], v[52:53], v[4:5]
	v_fma_f64 v[50:51], v[50:51], v[6:7], -v[4:5]
	ds_read_b128 v[4:7], v247 offset:14336
	s_clause 0x3
	buffer_load_dword v54, off, s[36:39], 0 offset:368
	;; [unrolled: 11-line block ×6, first 2 shown]
	buffer_load_dword v71, off, s[36:39], 0 offset:452
	buffer_load_dword v72, off, s[36:39], 0 offset:456
	;; [unrolled: 1-line block ×3, first 2 shown]
	s_waitcnt vmcnt(0) lgkmcnt(0)
	v_mul_f64 v[68:69], v[72:73], v[6:7]
	v_fma_f64 v[68:69], v[70:71], v[4:5], v[68:69]
	v_mul_f64 v[4:5], v[72:73], v[4:5]
	v_fma_f64 v[70:71], v[70:71], v[6:7], -v[4:5]
	s_clause 0x1
	buffer_load_dword v6, off, s[36:39], 0 offset:532
	buffer_load_dword v7, off, s[36:39], 0 offset:536
	s_waitcnt vmcnt(1)
	v_mad_u64_u32 v[4:5], null, s2, v6, 0
	v_mad_u64_u32 v[5:6], null, s3, v6, v[5:6]
	s_load_dwordx2 s[2:3], s[4:5], 0x38
	s_waitcnt vmcnt(0)
	v_mad_u64_u32 v[6:7], null, s0, v253, 0
	s_mul_i32 s4, s1, 0x1800
	s_mul_hi_u32 s5, s0, 0x1800
	v_lshlrev_b64 v[4:5], 4, v[4:5]
	s_add_i32 s4, s5, s4
	s_mul_i32 s5, s0, 0x1800
	v_mad_u64_u32 v[72:73], null, s1, v253, v[7:8]
	s_mul_i32 s1, s1, 0xffff3000
	s_sub_i32 s1, s1, s0
	v_mov_b32_e32 v7, v72
	s_waitcnt lgkmcnt(0)
	v_add_co_u32 v72, vcc_lo, s2, v4
	v_add_co_ci_u32_e32 v73, vcc_lo, s3, v5, vcc_lo
	s_mov_b32 s2, 0x11111111
	s_mov_b32 s3, 0x3f311111
	v_lshlrev_b64 v[4:5], 4, v[6:7]
	v_mul_f64 v[0:1], v[0:1], s[2:3]
	v_mul_f64 v[2:3], v[2:3], s[2:3]
	;; [unrolled: 1-line block ×4, first 2 shown]
	v_add_co_u32 v4, vcc_lo, v72, v4
	v_add_co_ci_u32_e32 v5, vcc_lo, v73, v5, vcc_lo
	global_store_dwordx4 v[4:5], v[0:3], off
	v_mul_f64 v[0:1], v[8:9], s[2:3]
	v_mul_f64 v[2:3], v[10:11], s[2:3]
	v_add_co_u32 v8, vcc_lo, v4, s5
	v_add_co_ci_u32_e32 v9, vcc_lo, s4, v5, vcc_lo
	v_mul_f64 v[4:5], v[16:17], s[2:3]
	v_mul_f64 v[10:11], v[22:23], s[2:3]
	;; [unrolled: 1-line block ×4, first 2 shown]
	global_store_dwordx4 v[8:9], v[0:3], off
	v_mul_f64 v[0:1], v[12:13], s[2:3]
	v_mul_f64 v[2:3], v[14:15], s[2:3]
	v_add_co_u32 v12, vcc_lo, v8, s5
	v_add_co_ci_u32_e32 v13, vcc_lo, s4, v9, vcc_lo
	v_mul_f64 v[8:9], v[20:21], s[2:3]
	v_add_co_u32 v20, vcc_lo, v12, s5
	v_add_co_ci_u32_e32 v21, vcc_lo, s4, v13, vcc_lo
	v_mul_f64 v[14:15], v[26:27], s[2:3]
	global_store_dwordx4 v[12:13], v[0:3], off
	v_mul_f64 v[12:13], v[24:25], s[2:3]
	v_add_co_u32 v24, vcc_lo, v20, s5
	v_add_co_ci_u32_e32 v25, vcc_lo, s4, v21, vcc_lo
	global_store_dwordx4 v[20:21], v[4:7], off
	ds_read_b128 v[0:3], v247 offset:45056
	ds_read_b128 v[4:7], v247 offset:51200
	global_store_dwordx4 v[24:25], v[8:11], off
	s_clause 0x3
	buffer_load_dword v8, off, s[36:39], 0 offset:416
	buffer_load_dword v9, off, s[36:39], 0 offset:420
	;; [unrolled: 1-line block ×4, first 2 shown]
	v_add_co_u32 v24, vcc_lo, v24, s5
	v_add_co_ci_u32_e32 v25, vcc_lo, s4, v25, vcc_lo
	v_mul_f64 v[20:21], v[32:33], s[2:3]
	v_add_co_u32 v30, vcc_lo, v24, s5
	v_add_co_ci_u32_e32 v31, vcc_lo, s4, v25, vcc_lo
	v_add_co_u32 v32, vcc_lo, v30, s5
	global_store_dwordx4 v[24:25], v[12:15], off
	global_store_dwordx4 v[30:31], v[16:19], off
	ds_read_b128 v[12:15], v247 offset:4096
	ds_read_b128 v[16:19], v247 offset:57344
	v_add_co_ci_u32_e32 v33, vcc_lo, s4, v31, vcc_lo
	v_add_co_u32 v30, vcc_lo, v32, s5
	v_add_co_ci_u32_e32 v31, vcc_lo, s4, v33, vcc_lo
	s_waitcnt vmcnt(0) lgkmcnt(3)
	v_mul_f64 v[26:27], v[10:11], v[2:3]
	v_mul_f64 v[28:29], v[10:11], v[0:1]
	v_mov_b32_e32 v35, v9
	v_mov_b32_e32 v34, v8
	v_mul_f64 v[8:9], v[36:37], s[2:3]
	v_mul_f64 v[10:11], v[38:39], s[2:3]
	v_add_co_u32 v38, vcc_lo, v30, s5
	v_add_co_ci_u32_e32 v39, vcc_lo, s4, v31, vcc_lo
	v_fma_f64 v[72:73], v[34:35], v[0:1], v[26:27]
	v_fma_f64 v[74:75], v[34:35], v[2:3], -v[28:29]
	s_clause 0x3
	buffer_load_dword v0, off, s[36:39], 0 offset:336
	buffer_load_dword v1, off, s[36:39], 0 offset:340
	;; [unrolled: 1-line block ×4, first 2 shown]
	global_store_dwordx4 v[32:33], v[20:23], off
	ds_read_b128 v[24:27], v247 offset:16384
	global_store_dwordx4 v[30:31], v[8:11], off
	ds_read_b128 v[20:23], v247 offset:28672
	s_clause 0x3
	buffer_load_dword v8, off, s[36:39], 0 offset:304
	buffer_load_dword v9, off, s[36:39], 0 offset:308
	;; [unrolled: 1-line block ×4, first 2 shown]
	v_mul_f64 v[28:29], v[48:49], s[2:3]
	v_mul_f64 v[30:31], v[50:51], s[2:3]
	;; [unrolled: 1-line block ×3, first 2 shown]
	s_waitcnt vmcnt(6)
	v_mov_b32_e32 v79, v1
	s_waitcnt vmcnt(4) lgkmcnt(4)
	v_mul_f64 v[34:35], v[2:3], v[6:7]
	v_mul_f64 v[36:37], v[2:3], v[4:5]
	v_mov_b32_e32 v78, v0
	v_mul_f64 v[0:1], v[40:41], s[2:3]
	v_mul_f64 v[2:3], v[42:43], s[2:3]
	s_waitcnt vmcnt(2)
	v_mov_b32_e32 v83, v9
	s_waitcnt vmcnt(0) lgkmcnt(2)
	v_mul_f64 v[40:41], v[10:11], v[18:19]
	v_mul_f64 v[42:43], v[10:11], v[16:17]
	v_mov_b32_e32 v82, v8
	v_mul_f64 v[8:9], v[44:45], s[2:3]
	v_mul_f64 v[10:11], v[46:47], s[2:3]
	v_mad_u64_u32 v[44:45], null, 0xffff3000, s0, v[38:39]
	v_add_nc_u32_e32 v45, s1, v45
	v_fma_f64 v[76:77], v[78:79], v[4:5], v[34:35]
	v_fma_f64 v[78:79], v[78:79], v[6:7], -v[36:37]
	ds_read_b128 v[4:7], v247 offset:40960
	ds_read_b128 v[32:35], v247 offset:10240
	global_store_dwordx4 v[38:39], v[0:3], off
	s_clause 0x3
	buffer_load_dword v0, off, s[36:39], 0 offset:272
	buffer_load_dword v1, off, s[36:39], 0 offset:276
	;; [unrolled: 1-line block ×4, first 2 shown]
	v_add_co_u32 v36, vcc_lo, v44, s5
	v_add_co_ci_u32_e32 v37, vcc_lo, s4, v45, vcc_lo
	v_fma_f64 v[80:81], v[82:83], v[16:17], v[40:41]
	v_fma_f64 v[82:83], v[82:83], v[18:19], -v[42:43]
	v_add_co_u32 v84, vcc_lo, v36, s5
	v_add_co_ci_u32_e32 v85, vcc_lo, s4, v37, vcc_lo
	v_add_co_u32 v90, vcc_lo, v84, s5
	v_add_co_ci_u32_e32 v91, vcc_lo, s4, v85, vcc_lo
	s_waitcnt vmcnt(2)
	v_mov_b32_e32 v49, v1
	s_waitcnt vmcnt(0)
	v_mul_f64 v[38:39], v[2:3], v[14:15]
	v_mul_f64 v[46:47], v[2:3], v[12:13]
	v_mov_b32_e32 v48, v0
	ds_read_b128 v[0:3], v247 offset:53248
	ds_read_b128 v[16:19], v247 offset:22528
	global_store_dwordx4 v[44:45], v[8:11], off
	global_store_dwordx4 v[36:37], v[28:31], off
	ds_read_b128 v[8:11], v247 offset:34816
	s_clause 0x3
	buffer_load_dword v40, off, s[36:39], 0 offset:192
	buffer_load_dword v41, off, s[36:39], 0 offset:196
	;; [unrolled: 1-line block ×4, first 2 shown]
	v_mul_f64 v[28:29], v[52:53], s[2:3]
	v_mul_f64 v[30:31], v[54:55], s[2:3]
	;; [unrolled: 1-line block ×4, first 2 shown]
	v_fma_f64 v[86:87], v[48:49], v[12:13], v[38:39]
	v_fma_f64 v[88:89], v[48:49], v[14:15], -v[46:47]
	ds_read_b128 v[12:15], v247 offset:47104
	v_mul_f64 v[46:47], v[66:67], s[2:3]
	v_mul_f64 v[38:39], v[58:59], s[2:3]
	v_mul_f64 v[48:49], v[68:69], s[2:3]
	v_mul_f64 v[58:59], v[82:83], s[2:3]
	s_waitcnt vmcnt(0) lgkmcnt(4)
	v_mul_f64 v[52:53], v[42:43], v[34:35]
	v_mul_f64 v[54:55], v[42:43], v[32:33]
	v_mov_b32_e32 v57, v41
	v_mov_b32_e32 v56, v40
	v_mul_f64 v[40:41], v[60:61], s[2:3]
	v_mul_f64 v[42:43], v[62:63], s[2:3]
	v_add_co_u32 v60, vcc_lo, v90, s5
	v_add_co_ci_u32_e32 v61, vcc_lo, s4, v91, vcc_lo
	v_add_co_u32 v62, vcc_lo, v60, s5
	v_add_co_ci_u32_e32 v63, vcc_lo, s4, v61, vcc_lo
	;; [unrolled: 2-line block ×3, first 2 shown]
	v_add_co_u32 v70, vcc_lo, v68, s5
	v_fma_f64 v[64:65], v[56:57], v[32:33], v[52:53]
	v_fma_f64 v[66:67], v[56:57], v[34:35], -v[54:55]
	v_mul_f64 v[54:55], v[78:79], s[2:3]
	v_mul_f64 v[56:57], v[80:81], s[2:3]
	s_clause 0x3
	buffer_load_dword v78, off, s[36:39], 0 offset:32
	buffer_load_dword v79, off, s[36:39], 0 offset:36
	;; [unrolled: 1-line block ×4, first 2 shown]
	global_store_dwordx4 v[84:85], v[28:31], off
	global_store_dwordx4 v[90:91], v[36:39], off
	;; [unrolled: 1-line block ×3, first 2 shown]
	v_mul_f64 v[32:33], v[72:73], s[2:3]
	v_mul_f64 v[34:35], v[74:75], s[2:3]
	ds_read_b128 v[28:31], v247 offset:59392
	s_clause 0x3
	buffer_load_dword v36, off, s[36:39], 0 offset:16
	buffer_load_dword v37, off, s[36:39], 0 offset:20
	;; [unrolled: 1-line block ×4, first 2 shown]
	v_mul_f64 v[52:53], v[76:77], s[2:3]
	v_add_co_ci_u32_e32 v71, vcc_lo, s4, v69, vcc_lo
	v_add_co_u32 v72, vcc_lo, v70, s5
	v_add_co_ci_u32_e32 v73, vcc_lo, s4, v71, vcc_lo
	s_waitcnt vmcnt(4)
	v_mul_f64 v[74:75], v[80:81], v[26:27]
	v_mul_f64 v[76:77], v[80:81], v[24:25]
	v_mov_b32_e32 v81, v79
	v_mov_b32_e32 v80, v78
	v_add_co_u32 v78, vcc_lo, v72, s5
	v_add_co_ci_u32_e32 v79, vcc_lo, s4, v73, vcc_lo
	global_store_dwordx4 v[62:63], v[44:47], off
	global_store_dwordx4 v[68:69], v[48:51], off
	;; [unrolled: 1-line block ×5, first 2 shown]
	s_clause 0x7
	buffer_load_dword v48, off, s[36:39], 0 offset:48
	buffer_load_dword v49, off, s[36:39], 0 offset:52
	;; [unrolled: 1-line block ×8, first 2 shown]
	s_waitcnt vmcnt(8) lgkmcnt(3)
	v_mul_f64 v[42:43], v[38:39], v[18:19]
	v_mul_f64 v[60:61], v[38:39], v[16:17]
	v_mov_b32_e32 v83, v37
	v_mov_b32_e32 v82, v36
	v_mad_u64_u32 v[40:41], null, 0xffff3000, s0, v[78:79]
	v_mul_f64 v[36:37], v[64:65], s[2:3]
	v_mul_f64 v[38:39], v[66:67], s[2:3]
	;; [unrolled: 1-line block ×4, first 2 shown]
	v_fma_f64 v[24:25], v[80:81], v[24:25], v[74:75]
	v_fma_f64 v[26:27], v[80:81], v[26:27], -v[76:77]
	v_add_nc_u32_e32 v41, s1, v41
	v_fma_f64 v[42:43], v[82:83], v[16:17], v[42:43]
	s_waitcnt vmcnt(4)
	v_mul_f64 v[44:45], v[50:51], v[22:23]
	s_waitcnt vmcnt(2)
	v_mov_b32_e32 v75, v55
	v_mov_b32_e32 v74, v54
	v_fma_f64 v[54:55], v[82:83], v[18:19], -v[60:61]
	s_clause 0x3
	buffer_load_dword v16, off, s[36:39], 0 offset:208
	buffer_load_dword v17, off, s[36:39], 0 offset:212
	;; [unrolled: 1-line block ×4, first 2 shown]
	v_mul_f64 v[46:47], v[50:51], v[20:21]
	s_waitcnt vmcnt(4) lgkmcnt(2)
	v_mul_f64 v[50:51], v[56:57], v[10:11]
	v_mul_f64 v[52:53], v[56:57], v[8:9]
	v_mov_b32_e32 v73, v49
	v_mov_b32_e32 v72, v48
	v_add_co_u32 v48, vcc_lo, v40, s5
	v_add_co_ci_u32_e32 v49, vcc_lo, s4, v41, vcc_lo
	v_fma_f64 v[20:21], v[72:73], v[20:21], v[44:45]
	v_fma_f64 v[22:23], v[72:73], v[22:23], -v[46:47]
	s_waitcnt vmcnt(2)
	v_mov_b32_e32 v77, v17
	s_waitcnt vmcnt(0)
	v_mul_f64 v[56:57], v[18:19], v[6:7]
	v_mul_f64 v[58:59], v[18:19], v[4:5]
	v_mov_b32_e32 v76, v16
	s_clause 0x3
	buffer_load_dword v16, off, s[36:39], 0 offset:240
	buffer_load_dword v17, off, s[36:39], 0 offset:244
	;; [unrolled: 1-line block ×4, first 2 shown]
	s_waitcnt vmcnt(2)
	v_mov_b32_e32 v79, v17
	s_waitcnt vmcnt(0) lgkmcnt(1)
	v_mul_f64 v[60:61], v[18:19], v[14:15]
	v_mul_f64 v[62:63], v[18:19], v[12:13]
	v_mov_b32_e32 v78, v16
	s_clause 0x3
	buffer_load_dword v16, off, s[36:39], 0 offset:288
	buffer_load_dword v17, off, s[36:39], 0 offset:292
	;; [unrolled: 1-line block ×4, first 2 shown]
	s_waitcnt vmcnt(2)
	v_mov_b32_e32 v81, v17
	s_waitcnt vmcnt(0)
	v_mul_f64 v[64:65], v[18:19], v[2:3]
	v_mul_f64 v[66:67], v[18:19], v[0:1]
	v_mov_b32_e32 v80, v16
	s_clause 0x3
	buffer_load_dword v16, off, s[36:39], 0 offset:320
	buffer_load_dword v17, off, s[36:39], 0 offset:324
	;; [unrolled: 1-line block ×4, first 2 shown]
	global_store_dwordx4 v[40:41], v[32:35], off
	global_store_dwordx4 v[48:49], v[36:39], off
	v_fma_f64 v[34:35], v[76:77], v[4:5], v[56:57]
	v_fma_f64 v[36:37], v[76:77], v[6:7], -v[58:59]
	v_fma_f64 v[38:39], v[78:79], v[12:13], v[60:61]
	v_fma_f64 v[40:41], v[78:79], v[14:15], -v[62:63]
	v_add_co_u32 v32, vcc_lo, v48, s5
	v_add_co_ci_u32_e32 v33, vcc_lo, s4, v49, vcc_lo
	v_add_co_u32 v46, vcc_lo, v32, s5
	v_add_co_ci_u32_e32 v47, vcc_lo, s4, v33, vcc_lo
	;; [unrolled: 2-line block ×3, first 2 shown]
	v_fma_f64 v[44:45], v[80:81], v[2:3], -v[66:67]
	v_mul_f64 v[2:3], v[22:23], s[2:3]
	v_mul_f64 v[12:13], v[34:35], s[2:3]
	;; [unrolled: 1-line block ×4, first 2 shown]
	s_waitcnt vmcnt(0) lgkmcnt(0)
	v_mul_f64 v[68:69], v[18:19], v[30:31]
	v_mul_f64 v[70:71], v[18:19], v[28:29]
	v_mov_b32_e32 v83, v17
	v_mov_b32_e32 v82, v16
	v_mul_f64 v[16:17], v[24:25], s[2:3]
	v_mul_f64 v[18:19], v[26:27], s[2:3]
	v_fma_f64 v[24:25], v[74:75], v[8:9], v[50:51]
	v_fma_f64 v[26:27], v[74:75], v[10:11], -v[52:53]
	v_mul_f64 v[8:9], v[42:43], s[2:3]
	v_fma_f64 v[42:43], v[80:81], v[0:1], v[64:65]
	v_mul_f64 v[10:11], v[54:55], s[2:3]
	v_mul_f64 v[0:1], v[20:21], s[2:3]
	v_add_co_u32 v50, vcc_lo, v48, s5
	v_add_co_ci_u32_e32 v51, vcc_lo, s4, v49, vcc_lo
	v_mul_f64 v[20:21], v[38:39], s[2:3]
	v_add_co_u32 v34, vcc_lo, v50, s5
	v_add_co_ci_u32_e32 v35, vcc_lo, s4, v51, vcc_lo
	v_fma_f64 v[28:29], v[82:83], v[28:29], v[68:69]
	v_fma_f64 v[30:31], v[82:83], v[30:31], -v[70:71]
	global_store_dwordx4 v[32:33], v[16:19], off
	v_mul_f64 v[4:5], v[24:25], s[2:3]
	v_mul_f64 v[6:7], v[26:27], s[2:3]
	;; [unrolled: 1-line block ×4, first 2 shown]
	v_add_co_u32 v16, vcc_lo, v34, s5
	v_add_co_ci_u32_e32 v17, vcc_lo, s4, v35, vcc_lo
	global_store_dwordx4 v[46:47], v[8:11], off
	v_add_co_u32 v8, vcc_lo, v16, s5
	v_add_co_ci_u32_e32 v9, vcc_lo, s4, v17, vcc_lo
	global_store_dwordx4 v[48:49], v[0:3], off
	v_add_co_u32 v0, vcc_lo, v8, s5
	v_mul_f64 v[28:29], v[28:29], s[2:3]
	v_mul_f64 v[30:31], v[30:31], s[2:3]
	v_add_co_ci_u32_e32 v1, vcc_lo, s4, v9, vcc_lo
	global_store_dwordx4 v[50:51], v[4:7], off
	global_store_dwordx4 v[34:35], v[12:15], off
	;; [unrolled: 1-line block ×5, first 2 shown]
.LBB0_2:
	s_endpgm
	.section	.rodata,"a",@progbits
	.p2align	6, 0x0
	.amdhsa_kernel bluestein_single_back_len3840_dim1_dp_op_CI_CI
		.amdhsa_group_segment_fixed_size 61440
		.amdhsa_private_segment_fixed_size 2220
		.amdhsa_kernarg_size 104
		.amdhsa_user_sgpr_count 6
		.amdhsa_user_sgpr_private_segment_buffer 1
		.amdhsa_user_sgpr_dispatch_ptr 0
		.amdhsa_user_sgpr_queue_ptr 0
		.amdhsa_user_sgpr_kernarg_segment_ptr 1
		.amdhsa_user_sgpr_dispatch_id 0
		.amdhsa_user_sgpr_flat_scratch_init 0
		.amdhsa_user_sgpr_private_segment_size 0
		.amdhsa_wavefront_size32 1
		.amdhsa_uses_dynamic_stack 0
		.amdhsa_system_sgpr_private_segment_wavefront_offset 1
		.amdhsa_system_sgpr_workgroup_id_x 1
		.amdhsa_system_sgpr_workgroup_id_y 0
		.amdhsa_system_sgpr_workgroup_id_z 0
		.amdhsa_system_sgpr_workgroup_info 0
		.amdhsa_system_vgpr_workitem_id 0
		.amdhsa_next_free_vgpr 256
		.amdhsa_next_free_sgpr 40
		.amdhsa_reserve_vcc 1
		.amdhsa_reserve_flat_scratch 0
		.amdhsa_float_round_mode_32 0
		.amdhsa_float_round_mode_16_64 0
		.amdhsa_float_denorm_mode_32 3
		.amdhsa_float_denorm_mode_16_64 3
		.amdhsa_dx10_clamp 1
		.amdhsa_ieee_mode 1
		.amdhsa_fp16_overflow 0
		.amdhsa_workgroup_processor_mode 1
		.amdhsa_memory_ordered 1
		.amdhsa_forward_progress 0
		.amdhsa_shared_vgpr_count 0
		.amdhsa_exception_fp_ieee_invalid_op 0
		.amdhsa_exception_fp_denorm_src 0
		.amdhsa_exception_fp_ieee_div_zero 0
		.amdhsa_exception_fp_ieee_overflow 0
		.amdhsa_exception_fp_ieee_underflow 0
		.amdhsa_exception_fp_ieee_inexact 0
		.amdhsa_exception_int_div_zero 0
	.end_amdhsa_kernel
	.text
.Lfunc_end0:
	.size	bluestein_single_back_len3840_dim1_dp_op_CI_CI, .Lfunc_end0-bluestein_single_back_len3840_dim1_dp_op_CI_CI
                                        ; -- End function
	.section	.AMDGPU.csdata,"",@progbits
; Kernel info:
; codeLenInByte = 56500
; NumSgprs: 42
; NumVgprs: 256
; ScratchSize: 2220
; MemoryBound: 0
; FloatMode: 240
; IeeeMode: 1
; LDSByteSize: 61440 bytes/workgroup (compile time only)
; SGPRBlocks: 5
; VGPRBlocks: 31
; NumSGPRsForWavesPerEU: 42
; NumVGPRsForWavesPerEU: 256
; Occupancy: 2
; WaveLimiterHint : 1
; COMPUTE_PGM_RSRC2:SCRATCH_EN: 1
; COMPUTE_PGM_RSRC2:USER_SGPR: 6
; COMPUTE_PGM_RSRC2:TRAP_HANDLER: 0
; COMPUTE_PGM_RSRC2:TGID_X_EN: 1
; COMPUTE_PGM_RSRC2:TGID_Y_EN: 0
; COMPUTE_PGM_RSRC2:TGID_Z_EN: 0
; COMPUTE_PGM_RSRC2:TIDIG_COMP_CNT: 0
	.text
	.p2alignl 6, 3214868480
	.fill 48, 4, 3214868480
	.type	__hip_cuid_59a5e26dc60cc5c9,@object ; @__hip_cuid_59a5e26dc60cc5c9
	.section	.bss,"aw",@nobits
	.globl	__hip_cuid_59a5e26dc60cc5c9
__hip_cuid_59a5e26dc60cc5c9:
	.byte	0                               ; 0x0
	.size	__hip_cuid_59a5e26dc60cc5c9, 1

	.ident	"AMD clang version 19.0.0git (https://github.com/RadeonOpenCompute/llvm-project roc-6.4.0 25133 c7fe45cf4b819c5991fe208aaa96edf142730f1d)"
	.section	".note.GNU-stack","",@progbits
	.addrsig
	.addrsig_sym __hip_cuid_59a5e26dc60cc5c9
	.amdgpu_metadata
---
amdhsa.kernels:
  - .args:
      - .actual_access:  read_only
        .address_space:  global
        .offset:         0
        .size:           8
        .value_kind:     global_buffer
      - .actual_access:  read_only
        .address_space:  global
        .offset:         8
        .size:           8
        .value_kind:     global_buffer
      - .actual_access:  read_only
        .address_space:  global
        .offset:         16
        .size:           8
        .value_kind:     global_buffer
      - .actual_access:  read_only
        .address_space:  global
        .offset:         24
        .size:           8
        .value_kind:     global_buffer
      - .actual_access:  read_only
        .address_space:  global
        .offset:         32
        .size:           8
        .value_kind:     global_buffer
      - .offset:         40
        .size:           8
        .value_kind:     by_value
      - .address_space:  global
        .offset:         48
        .size:           8
        .value_kind:     global_buffer
      - .address_space:  global
        .offset:         56
        .size:           8
        .value_kind:     global_buffer
      - .address_space:  global
        .offset:         64
        .size:           8
        .value_kind:     global_buffer
      - .address_space:  global
        .offset:         72
        .size:           8
        .value_kind:     global_buffer
      - .offset:         80
        .size:           4
        .value_kind:     by_value
      - .address_space:  global
        .offset:         88
        .size:           8
        .value_kind:     global_buffer
      - .address_space:  global
        .offset:         96
        .size:           8
        .value_kind:     global_buffer
    .group_segment_fixed_size: 61440
    .kernarg_segment_align: 8
    .kernarg_segment_size: 104
    .language:       OpenCL C
    .language_version:
      - 2
      - 0
    .max_flat_workgroup_size: 128
    .name:           bluestein_single_back_len3840_dim1_dp_op_CI_CI
    .private_segment_fixed_size: 2220
    .sgpr_count:     42
    .sgpr_spill_count: 0
    .symbol:         bluestein_single_back_len3840_dim1_dp_op_CI_CI.kd
    .uniform_work_group_size: 1
    .uses_dynamic_stack: false
    .vgpr_count:     256
    .vgpr_spill_count: 554
    .wavefront_size: 32
    .workgroup_processor_mode: 1
amdhsa.target:   amdgcn-amd-amdhsa--gfx1030
amdhsa.version:
  - 1
  - 2
...

	.end_amdgpu_metadata
